;; amdgpu-corpus repo=ROCm/rocFFT kind=compiled arch=gfx1030 opt=O3
	.text
	.amdgcn_target "amdgcn-amd-amdhsa--gfx1030"
	.amdhsa_code_object_version 6
	.protected	fft_rtc_back_len595_factors_7_17_5_wgs_51_tpt_17_halfLds_dp_op_CI_CI_unitstride_sbrr_dirReg ; -- Begin function fft_rtc_back_len595_factors_7_17_5_wgs_51_tpt_17_halfLds_dp_op_CI_CI_unitstride_sbrr_dirReg
	.globl	fft_rtc_back_len595_factors_7_17_5_wgs_51_tpt_17_halfLds_dp_op_CI_CI_unitstride_sbrr_dirReg
	.p2align	8
	.type	fft_rtc_back_len595_factors_7_17_5_wgs_51_tpt_17_halfLds_dp_op_CI_CI_unitstride_sbrr_dirReg,@function
fft_rtc_back_len595_factors_7_17_5_wgs_51_tpt_17_halfLds_dp_op_CI_CI_unitstride_sbrr_dirReg: ; @fft_rtc_back_len595_factors_7_17_5_wgs_51_tpt_17_halfLds_dp_op_CI_CI_unitstride_sbrr_dirReg
; %bb.0:
	s_load_dwordx4 s[12:15], s[4:5], 0x0
	v_mul_u32_u24_e32 v1, 0xf10, v0
	s_clause 0x1
	s_load_dwordx4 s[8:11], s[4:5], 0x58
	s_load_dwordx4 s[16:19], s[4:5], 0x18
	v_mov_b32_e32 v6, 0
	v_mov_b32_e32 v7, 0
	s_mov_b64 s[62:63], s[2:3]
	v_lshrrev_b32_e32 v2, 16, v1
	v_mov_b32_e32 v1, 0
	s_mov_b64 s[60:61], s[0:1]
	v_mov_b32_e32 v233, v7
	v_mov_b32_e32 v232, v6
	v_mad_u64_u32 v[4:5], null, s6, 3, v[2:3]
	v_mov_b32_e32 v5, v1
	s_add_u32 s60, s60, s7
	s_addc_u32 s61, s61, 0
	v_mov_b32_e32 v235, v5
	v_mov_b32_e32 v234, v4
	s_waitcnt lgkmcnt(0)
	v_cmp_lt_u64_e64 s0, s[14:15], 2
	s_and_b32 vcc_lo, exec_lo, s0
	s_cbranch_vccnz .LBB0_8
; %bb.1:
	s_load_dwordx2 s[0:1], s[4:5], 0x10
	v_mov_b32_e32 v6, 0
	v_mov_b32_e32 v7, 0
	s_add_u32 s2, s18, 8
	v_mov_b32_e32 v9, v5
	s_addc_u32 s3, s19, 0
	v_mov_b32_e32 v8, v4
	v_mov_b32_e32 v233, v7
	s_add_u32 s6, s16, 8
	v_mov_b32_e32 v232, v6
	s_addc_u32 s7, s17, 0
	s_mov_b64 s[22:23], 1
	s_waitcnt lgkmcnt(0)
	s_add_u32 s20, s0, 8
	s_addc_u32 s21, s1, 0
.LBB0_2:                                ; =>This Inner Loop Header: Depth=1
	s_load_dwordx2 s[24:25], s[20:21], 0x0
                                        ; implicit-def: $vgpr234_vgpr235
	s_mov_b32 s0, exec_lo
	s_waitcnt lgkmcnt(0)
	v_or_b32_e32 v2, s25, v9
	v_cmpx_ne_u64_e32 0, v[1:2]
	s_xor_b32 s1, exec_lo, s0
	s_cbranch_execz .LBB0_4
; %bb.3:                                ;   in Loop: Header=BB0_2 Depth=1
	v_cvt_f32_u32_e32 v2, s24
	v_cvt_f32_u32_e32 v3, s25
	s_sub_u32 s0, 0, s24
	s_subb_u32 s26, 0, s25
	v_fmac_f32_e32 v2, 0x4f800000, v3
	v_rcp_f32_e32 v2, v2
	v_mul_f32_e32 v2, 0x5f7ffffc, v2
	v_mul_f32_e32 v3, 0x2f800000, v2
	v_trunc_f32_e32 v3, v3
	v_fmac_f32_e32 v2, 0xcf800000, v3
	v_cvt_u32_f32_e32 v3, v3
	v_cvt_u32_f32_e32 v2, v2
	v_mul_lo_u32 v5, s0, v3
	v_mul_hi_u32 v10, s0, v2
	v_mul_lo_u32 v11, s26, v2
	v_add_nc_u32_e32 v5, v10, v5
	v_mul_lo_u32 v10, s0, v2
	v_add_nc_u32_e32 v5, v5, v11
	v_mul_hi_u32 v11, v2, v10
	v_mul_lo_u32 v12, v2, v5
	v_mul_hi_u32 v13, v2, v5
	v_mul_hi_u32 v14, v3, v10
	v_mul_lo_u32 v10, v3, v10
	v_mul_hi_u32 v15, v3, v5
	v_mul_lo_u32 v5, v3, v5
	v_add_co_u32 v11, vcc_lo, v11, v12
	v_add_co_ci_u32_e32 v12, vcc_lo, 0, v13, vcc_lo
	v_add_co_u32 v10, vcc_lo, v11, v10
	v_add_co_ci_u32_e32 v10, vcc_lo, v12, v14, vcc_lo
	v_add_co_ci_u32_e32 v11, vcc_lo, 0, v15, vcc_lo
	v_add_co_u32 v5, vcc_lo, v10, v5
	v_add_co_ci_u32_e32 v10, vcc_lo, 0, v11, vcc_lo
	v_add_co_u32 v2, vcc_lo, v2, v5
	v_add_co_ci_u32_e32 v3, vcc_lo, v3, v10, vcc_lo
	v_mul_hi_u32 v5, s0, v2
	v_mul_lo_u32 v11, s26, v2
	v_mul_lo_u32 v10, s0, v3
	v_add_nc_u32_e32 v5, v5, v10
	v_mul_lo_u32 v10, s0, v2
	v_add_nc_u32_e32 v5, v5, v11
	v_mul_hi_u32 v11, v2, v10
	v_mul_lo_u32 v12, v2, v5
	v_mul_hi_u32 v13, v2, v5
	v_mul_hi_u32 v14, v3, v10
	v_mul_lo_u32 v10, v3, v10
	v_mul_hi_u32 v15, v3, v5
	v_mul_lo_u32 v5, v3, v5
	v_add_co_u32 v11, vcc_lo, v11, v12
	v_add_co_ci_u32_e32 v12, vcc_lo, 0, v13, vcc_lo
	v_add_co_u32 v10, vcc_lo, v11, v10
	v_add_co_ci_u32_e32 v10, vcc_lo, v12, v14, vcc_lo
	v_add_co_ci_u32_e32 v11, vcc_lo, 0, v15, vcc_lo
	v_add_co_u32 v5, vcc_lo, v10, v5
	v_add_co_ci_u32_e32 v10, vcc_lo, 0, v11, vcc_lo
	v_add_co_u32 v5, vcc_lo, v2, v5
	v_add_co_ci_u32_e32 v12, vcc_lo, v3, v10, vcc_lo
	v_mul_hi_u32 v14, v8, v5
	v_mad_u64_u32 v[10:11], null, v9, v5, 0
	v_mad_u64_u32 v[2:3], null, v8, v12, 0
	;; [unrolled: 1-line block ×3, first 2 shown]
	v_add_co_u32 v2, vcc_lo, v14, v2
	v_add_co_ci_u32_e32 v3, vcc_lo, 0, v3, vcc_lo
	v_add_co_u32 v2, vcc_lo, v2, v10
	v_add_co_ci_u32_e32 v2, vcc_lo, v3, v11, vcc_lo
	v_add_co_ci_u32_e32 v3, vcc_lo, 0, v13, vcc_lo
	v_add_co_u32 v5, vcc_lo, v2, v12
	v_add_co_ci_u32_e32 v10, vcc_lo, 0, v3, vcc_lo
	v_mul_lo_u32 v11, s25, v5
	v_mad_u64_u32 v[2:3], null, s24, v5, 0
	v_mul_lo_u32 v12, s24, v10
	v_sub_co_u32 v2, vcc_lo, v8, v2
	v_add3_u32 v3, v3, v12, v11
	v_sub_nc_u32_e32 v11, v9, v3
	v_subrev_co_ci_u32_e64 v11, s0, s25, v11, vcc_lo
	v_add_co_u32 v12, s0, v5, 2
	v_add_co_ci_u32_e64 v13, s0, 0, v10, s0
	v_sub_co_u32 v14, s0, v2, s24
	v_sub_co_ci_u32_e32 v3, vcc_lo, v9, v3, vcc_lo
	v_subrev_co_ci_u32_e64 v11, s0, 0, v11, s0
	v_cmp_le_u32_e32 vcc_lo, s24, v14
	v_cmp_eq_u32_e64 s0, s25, v3
	v_cndmask_b32_e64 v14, 0, -1, vcc_lo
	v_cmp_le_u32_e32 vcc_lo, s25, v11
	v_cndmask_b32_e64 v15, 0, -1, vcc_lo
	v_cmp_le_u32_e32 vcc_lo, s24, v2
	v_cndmask_b32_e64 v2, 0, -1, vcc_lo
	v_cmp_le_u32_e32 vcc_lo, s25, v3
	v_cndmask_b32_e64 v16, 0, -1, vcc_lo
	v_cmp_eq_u32_e32 vcc_lo, s25, v11
	v_cndmask_b32_e64 v2, v16, v2, s0
	v_cndmask_b32_e32 v11, v15, v14, vcc_lo
	v_add_co_u32 v14, vcc_lo, v5, 1
	v_add_co_ci_u32_e32 v15, vcc_lo, 0, v10, vcc_lo
	v_cmp_ne_u32_e32 vcc_lo, 0, v11
	v_cndmask_b32_e32 v3, v15, v13, vcc_lo
	v_cndmask_b32_e32 v11, v14, v12, vcc_lo
	v_cmp_ne_u32_e32 vcc_lo, 0, v2
	v_cndmask_b32_e32 v235, v10, v3, vcc_lo
	v_cndmask_b32_e32 v234, v5, v11, vcc_lo
.LBB0_4:                                ;   in Loop: Header=BB0_2 Depth=1
	s_andn2_saveexec_b32 s0, s1
	s_cbranch_execz .LBB0_6
; %bb.5:                                ;   in Loop: Header=BB0_2 Depth=1
	v_cvt_f32_u32_e32 v2, s24
	s_sub_i32 s1, 0, s24
	v_mov_b32_e32 v235, v1
	v_rcp_iflag_f32_e32 v2, v2
	v_mul_f32_e32 v2, 0x4f7ffffe, v2
	v_cvt_u32_f32_e32 v2, v2
	v_mul_lo_u32 v3, s1, v2
	v_mul_hi_u32 v3, v2, v3
	v_add_nc_u32_e32 v2, v2, v3
	v_mul_hi_u32 v2, v8, v2
	v_mul_lo_u32 v3, v2, s24
	v_add_nc_u32_e32 v5, 1, v2
	v_sub_nc_u32_e32 v3, v8, v3
	v_subrev_nc_u32_e32 v10, s24, v3
	v_cmp_le_u32_e32 vcc_lo, s24, v3
	v_cndmask_b32_e32 v3, v3, v10, vcc_lo
	v_cndmask_b32_e32 v2, v2, v5, vcc_lo
	v_cmp_le_u32_e32 vcc_lo, s24, v3
	v_add_nc_u32_e32 v5, 1, v2
	v_cndmask_b32_e32 v234, v2, v5, vcc_lo
.LBB0_6:                                ;   in Loop: Header=BB0_2 Depth=1
	s_or_b32 exec_lo, exec_lo, s0
	v_mul_lo_u32 v5, v235, s24
	v_mul_lo_u32 v10, v234, s25
	s_load_dwordx2 s[0:1], s[6:7], 0x0
	v_mad_u64_u32 v[2:3], null, v234, s24, 0
	s_load_dwordx2 s[24:25], s[2:3], 0x0
	s_add_u32 s22, s22, 1
	s_addc_u32 s23, s23, 0
	s_add_u32 s2, s2, 8
	s_addc_u32 s3, s3, 0
	s_add_u32 s6, s6, 8
	v_add3_u32 v3, v3, v10, v5
	v_sub_co_u32 v2, vcc_lo, v8, v2
	s_addc_u32 s7, s7, 0
	s_add_u32 s20, s20, 8
	v_sub_co_ci_u32_e32 v3, vcc_lo, v9, v3, vcc_lo
	s_addc_u32 s21, s21, 0
	s_waitcnt lgkmcnt(0)
	v_mul_lo_u32 v5, s0, v3
	v_mul_lo_u32 v8, s1, v2
	v_mad_u64_u32 v[6:7], null, s0, v2, v[6:7]
	v_mul_lo_u32 v3, s24, v3
	v_mul_lo_u32 v9, s25, v2
	v_mad_u64_u32 v[232:233], null, s24, v2, v[232:233]
	v_cmp_ge_u64_e64 s0, s[22:23], s[14:15]
	v_add3_u32 v7, v8, v7, v5
	v_add3_u32 v233, v9, v233, v3
	s_and_b32 vcc_lo, exec_lo, s0
	s_cbranch_vccnz .LBB0_8
; %bb.7:                                ;   in Loop: Header=BB0_2 Depth=1
	v_mov_b32_e32 v8, v234
	v_mov_b32_e32 v9, v235
	s_branch .LBB0_2
.LBB0_8:
	s_load_dwordx2 s[0:1], s[4:5], 0x28
	v_mul_hi_u32 v1, 0xf0f0f10, v0
	s_lshl_b64 s[4:5], s[14:15], 3
                                        ; implicit-def: $vgpr238
	s_add_u32 s2, s18, s4
	s_addc_u32 s3, s19, s5
	s_waitcnt lgkmcnt(0)
	v_cmp_gt_u64_e32 vcc_lo, s[0:1], v[234:235]
	v_cmp_le_u64_e64 s0, s[0:1], v[234:235]
	s_and_saveexec_b32 s1, s0
	s_xor_b32 s0, exec_lo, s1
; %bb.9:
	v_mul_u32_u24_e32 v1, 17, v1
                                        ; implicit-def: $vgpr6_vgpr7
	v_sub_nc_u32_e32 v238, v0, v1
                                        ; implicit-def: $vgpr1
                                        ; implicit-def: $vgpr0
; %bb.10:
	s_or_saveexec_b32 s1, s0
                                        ; implicit-def: $vgpr134_vgpr135
                                        ; implicit-def: $vgpr130_vgpr131
                                        ; implicit-def: $vgpr118_vgpr119
                                        ; implicit-def: $vgpr114_vgpr115
                                        ; implicit-def: $vgpr102_vgpr103
                                        ; implicit-def: $vgpr90_vgpr91
                                        ; implicit-def: $vgpr76_vgpr77
                                        ; implicit-def: $vgpr158_vgpr159
                                        ; implicit-def: $vgpr150_vgpr151
                                        ; implicit-def: $vgpr146_vgpr147
                                        ; implicit-def: $vgpr142_vgpr143
                                        ; implicit-def: $vgpr122_vgpr123
                                        ; implicit-def: $vgpr126_vgpr127
                                        ; implicit-def: $vgpr2_vgpr3
                                        ; implicit-def: $vgpr98_vgpr99
                                        ; implicit-def: $vgpr182_vgpr183
                                        ; implicit-def: $vgpr178_vgpr179
                                        ; implicit-def: $vgpr166_vgpr167
                                        ; implicit-def: $vgpr154_vgpr155
                                        ; implicit-def: $vgpr106_vgpr107
                                        ; implicit-def: $vgpr56_vgpr57
                                        ; implicit-def: $vgpr218_vgpr219
                                        ; implicit-def: $vgpr206_vgpr207
                                        ; implicit-def: $vgpr198_vgpr199
                                        ; implicit-def: $vgpr202_vgpr203
                                        ; implicit-def: $vgpr190_vgpr191
                                        ; implicit-def: $vgpr138_vgpr139
                                        ; implicit-def: $vgpr62_vgpr63
                                        ; implicit-def: $vgpr230_vgpr231
                                        ; implicit-def: $vgpr226_vgpr227
                                        ; implicit-def: $vgpr222_vgpr223
                                        ; implicit-def: $vgpr214_vgpr215
                                        ; implicit-def: $vgpr210_vgpr211
                                        ; implicit-def: $vgpr174_vgpr175
                                        ; implicit-def: $vgpr72_vgpr73
	s_xor_b32 exec_lo, exec_lo, s1
	s_cbranch_execz .LBB0_12
; %bb.11:
	s_add_u32 s4, s16, s4
	s_addc_u32 s5, s17, s5
	s_load_dwordx2 s[4:5], s[4:5], 0x0
	s_waitcnt lgkmcnt(0)
	v_mul_lo_u32 v5, s5, v234
	v_mul_lo_u32 v8, s4, v235
	v_mad_u64_u32 v[2:3], null, s4, v234, 0
	v_add3_u32 v3, v3, v8, v5
	v_mul_u32_u24_e32 v8, 17, v1
	v_lshlrev_b64 v[5:6], 4, v[6:7]
	v_lshlrev_b64 v[1:2], 4, v[2:3]
	v_sub_nc_u32_e32 v238, v0, v8
	v_add_co_u32 v0, s0, s8, v1
	v_add_co_ci_u32_e64 v1, s0, s9, v2, s0
	v_lshlrev_b32_e32 v2, 4, v238
	v_add_co_u32 v0, s0, v0, v5
	v_add_co_ci_u32_e64 v1, s0, v1, v6, s0
	v_or_b32_e32 v3, 0x2200, v2
	v_add_co_u32 v5, s0, v0, v2
	v_add_co_ci_u32_e64 v6, s0, 0, v1, s0
	v_add_co_u32 v0, s0, v0, v3
	v_add_co_ci_u32_e64 v1, s0, 0, v1, s0
	;; [unrolled: 2-line block ×5, first 2 shown]
	v_add_co_u32 v13, s0, 0x2000, v5
	s_clause 0x1
	global_load_dwordx4 v[70:73], v[5:6], off
	global_load_dwordx4 v[60:63], v[5:6], off offset:272
	v_add_co_ci_u32_e64 v14, s0, 0, v6, s0
	s_clause 0x20
	global_load_dwordx4 v[136:139], v[5:6], off offset:1632
	global_load_dwordx4 v[104:107], v[5:6], off offset:1904
	global_load_dwordx4 v[96:99], v[0:1], off
	global_load_dwordx4 v[54:57], v[5:6], off offset:544
	global_load_dwordx4 v[0:3], v[5:6], off offset:816
	;; [unrolled: 1-line block ×30, first 2 shown]
.LBB0_12:
	s_or_b32 exec_lo, exec_lo, s1
	s_waitcnt vmcnt(1)
	v_add_f64 v[5:6], v[156:157], v[124:125]
	v_add_f64 v[7:8], v[148:149], v[120:121]
	;; [unrolled: 1-line block ×3, first 2 shown]
	v_add_f64 v[11:12], v[122:123], -v[150:151]
	v_add_f64 v[13:14], v[146:147], -v[142:143]
	;; [unrolled: 1-line block ×3, first 2 shown]
	v_add_f64 v[19:20], v[228:229], v[172:173]
	v_add_f64 v[21:22], v[224:225], v[208:209]
	v_add_f64 v[25:26], v[210:211], -v[226:227]
	v_add_f64 v[27:28], v[222:223], -v[214:215]
	;; [unrolled: 1-line block ×3, first 2 shown]
	s_mov_b32 s24, 0x37e14327
	s_mov_b32 s6, 0x36b3c0b5
	;; [unrolled: 1-line block ×8, first 2 shown]
	v_add_f64 v[23:24], v[220:221], v[212:213]
	v_add_f64 v[31:32], v[216:217], v[136:137]
	;; [unrolled: 1-line block ×3, first 2 shown]
	v_add_f64 v[37:38], v[190:191], -v[206:207]
	v_add_f64 v[17:18], v[7:8], v[5:6]
	v_add_f64 v[47:48], v[5:6], -v[9:10]
	v_add_f64 v[39:40], v[198:199], -v[202:203]
	v_add_f64 v[49:50], v[13:14], -v[11:12]
	v_add_f64 v[51:52], v[11:12], -v[15:16]
	v_add_f64 v[5:6], v[7:8], -v[5:6]
	v_add_f64 v[35:36], v[196:197], v[200:201]
	v_add_f64 v[41:42], v[138:139], -v[218:219]
	v_add_f64 v[43:44], v[96:97], v[104:105]
	v_add_f64 v[45:46], v[180:181], v[152:153]
	;; [unrolled: 1-line block ×4, first 2 shown]
	v_add_f64 v[168:169], v[27:28], -v[25:26]
	v_add_f64 v[25:26], v[25:26], -v[29:30]
	s_mov_b32 s20, 0xaaaaaaaa
	s_mov_b32 s14, 0x5476071b
	;; [unrolled: 1-line block ×8, first 2 shown]
	v_add_f64 v[17:18], v[9:10], v[17:18]
	v_add_f64 v[9:10], v[9:10], -v[7:8]
	v_add_f64 v[7:8], v[13:14], v[11:12]
	v_add_f64 v[11:12], v[15:16], -v[13:14]
	v_add_f64 v[13:14], v[21:22], v[19:20]
	v_mul_f64 v[47:48], v[47:48], s[24:25]
	v_mul_f64 v[49:50], v[49:50], s[26:27]
	;; [unrolled: 1-line block ×3, first 2 shown]
	s_mov_b32 s16, s14
	s_mov_b32 s18, s22
	v_mul_hi_u32 v53, 0xaaaaaaab, v4
	s_waitcnt vmcnt(0)
	v_add_f64 v[78:79], v[132:133], v[88:89]
	v_add_f64 v[80:81], v[128:129], v[100:101]
	v_add_f64 v[110:111], v[19:20], -v[23:24]
	v_add_f64 v[160:161], v[23:24], -v[21:22]
	v_add_f64 v[19:20], v[21:22], -v[19:20]
	v_add_f64 v[21:22], v[33:34], v[31:32]
	v_add_f64 v[192:193], v[39:40], -v[37:38]
	v_lshrrev_b32_e32 v53, 1, v53
	v_add_f64 v[64:65], v[154:155], -v[182:183]
	v_add_f64 v[66:67], v[178:179], -v[166:167]
	;; [unrolled: 1-line block ×3, first 2 shown]
	v_add_f64 v[108:109], v[0:1], v[17:18]
	v_mul_f64 v[0:1], v[9:10], s[6:7]
	v_add_f64 v[7:8], v[7:8], v[15:16]
	v_lshl_add_u32 v53, v53, 1, v53
	v_add_f64 v[13:14], v[23:24], v[13:14]
	v_fma_f64 v[15:16], v[5:6], s[16:17], -v[47:48]
	v_fma_f64 v[23:24], v[51:52], s[4:5], -v[49:50]
	;; [unrolled: 1-line block ×3, first 2 shown]
	v_sub_nc_u32_e32 v53, v4, v53
	v_add_f64 v[27:28], v[29:30], -v[27:28]
	v_add_f64 v[170:171], v[31:32], -v[35:36]
	;; [unrolled: 1-line block ×3, first 2 shown]
	v_add_f64 v[186:187], v[39:40], v[37:38]
	v_add_f64 v[31:32], v[33:34], -v[31:32]
	v_add_f64 v[33:34], v[45:46], v[43:44]
	v_add_f64 v[94:95], v[58:59], -v[45:46]
	s_mov_b32 s8, 0x37c3f68c
	s_mov_b32 s9, 0xbfdc38aa
	v_add_f64 v[82:83], v[116:117], v[112:113]
	v_add_f64 v[84:85], v[102:103], -v[130:131]
	v_add_f64 v[86:87], v[118:119], -v[114:115]
	;; [unrolled: 1-line block ×3, first 2 shown]
	v_fma_f64 v[17:18], v[17:18], s[20:21], v[108:109]
	v_fma_f64 v[0:1], v[5:6], s[14:15], -v[0:1]
	v_add_f64 v[4:5], v[37:38], -v[41:42]
	v_add_f64 v[37:38], v[43:44], -v[58:59]
	;; [unrolled: 1-line block ×3, first 2 shown]
	v_mul_f64 v[45:46], v[168:169], s[26:27]
	v_mul_f64 v[168:169], v[25:26], s[4:5]
	;; [unrolled: 1-line block ×4, first 2 shown]
	v_add_f64 v[21:22], v[35:36], v[21:22]
	v_mul_f64 v[35:36], v[192:193], s[26:27]
	v_add_f64 v[70:71], v[70:71], v[13:14]
	v_fma_f64 v[23:24], v[7:8], s[8:9], v[23:24]
	v_fma_f64 v[51:52], v[7:8], s[8:9], v[51:52]
	v_add_f64 v[243:244], v[80:81], v[78:79]
	v_add_f64 v[39:40], v[41:42], -v[39:40]
	v_add_f64 v[194:195], v[66:67], v[64:65]
	v_add_f64 v[236:237], v[66:67], -v[64:65]
	v_add_f64 v[64:65], v[64:65], -v[68:69]
	v_add_f64 v[29:30], v[162:163], v[29:30]
	v_add_f64 v[33:34], v[58:59], v[33:34]
	v_mul_u32_u24_e32 v6, 0x253, v53
	v_add_f64 v[15:16], v[15:16], v[17:18]
	v_add_f64 v[192:193], v[0:1], v[17:18]
	v_add_f64 v[245:246], v[78:79], -v[82:83]
	v_add_f64 v[247:248], v[82:83], -v[80:81]
	v_add_f64 v[41:42], v[186:187], v[41:42]
	v_fma_f64 v[58:59], v[27:28], s[22:23], v[45:46]
	v_fma_f64 v[25:26], v[25:26], s[4:5], -v[45:46]
	v_fma_f64 v[27:28], v[27:28], s[18:19], -v[168:169]
	v_mul_f64 v[162:163], v[170:171], s[24:25]
	v_mul_f64 v[170:171], v[4:5], s[4:5]
	v_fma_f64 v[45:46], v[160:161], s[6:7], v[110:111]
	v_fma_f64 v[110:111], v[19:20], s[16:17], -v[110:111]
	v_fma_f64 v[13:14], v[13:14], s[20:21], v[70:71]
	v_fma_f64 v[19:20], v[19:20], s[14:15], -v[241:242]
	v_add_f64 v[241:242], v[86:87], -v[84:85]
	v_add_f64 v[249:250], v[84:85], -v[92:93]
	v_add_f64 v[82:83], v[82:83], v[243:244]
	v_lshlrev_b32_e32 v239, 3, v6
	v_add_f64 v[60:61], v[60:61], v[21:22]
	v_mul_f64 v[243:244], v[184:185], s[6:7]
	v_add_f64 v[66:67], v[68:69], -v[66:67]
	v_fma_f64 v[160:161], v[39:40], s[22:23], v[35:36]
	v_add_f64 v[168:169], v[51:52], v[15:16]
	v_add_f64 v[186:187], v[192:193], -v[23:24]
	v_add_nc_u32_e32 v240, 0, v239
	v_mul_f64 v[37:38], v[37:38], s[24:25]
	v_mul_f64 v[236:237], v[236:237], s[26:27]
	v_fma_f64 v[4:5], v[4:5], s[4:5], -v[35:36]
	v_mul_f64 v[35:36], v[94:95], s[6:7]
	v_mad_u32_u24 v0, v238, 56, v240
	v_add_f64 v[53:54], v[54:55], v[33:34]
	v_fma_f64 v[58:59], v[29:30], s[8:9], v[58:59]
	v_fma_f64 v[25:26], v[29:30], s[8:9], v[25:26]
	;; [unrolled: 1-line block ×3, first 2 shown]
	v_add_nc_u32_e32 v1, 0xb38, v0
	v_mul_f64 v[29:30], v[64:65], s[4:5]
	v_fma_f64 v[39:40], v[39:40], s[18:19], -v[170:171]
	v_add_f64 v[45:46], v[45:46], v[13:14]
	v_add_f64 v[110:111], v[110:111], v[13:14]
	;; [unrolled: 1-line block ×3, first 2 shown]
	v_add_f64 v[19:20], v[80:81], -v[78:79]
	v_add_f64 v[78:79], v[86:87], v[84:85]
	v_add_f64 v[74:75], v[74:75], v[82:83]
	v_mul_f64 v[80:81], v[245:246], s[24:25]
	v_add_f64 v[84:85], v[92:93], -v[86:87]
	ds_write2_b64 v1, v[168:169], v[186:187] offset1:1
	v_mul_f64 v[86:87], v[241:242], s[26:27]
	v_mul_f64 v[168:169], v[249:250], s[4:5]
	v_fma_f64 v[170:171], v[184:185], s[6:7], v[162:163]
	v_mul_f64 v[184:185], v[247:248], s[6:7]
	v_fma_f64 v[21:22], v[21:22], s[20:21], v[60:61]
	v_fma_f64 v[162:163], v[31:32], s[16:17], -v[162:163]
	v_fma_f64 v[31:32], v[31:32], s[14:15], -v[243:244]
	v_add_f64 v[68:69], v[194:195], v[68:69]
	v_fma_f64 v[33:34], v[33:34], s[20:21], v[53:54]
	v_fma_f64 v[94:95], v[94:95], s[6:7], v[37:38]
	v_fma_f64 v[35:36], v[43:44], s[14:15], -v[35:36]
	v_fma_f64 v[37:38], v[43:44], s[16:17], -v[37:38]
	;; [unrolled: 1-line block ×4, first 2 shown]
	v_fma_f64 v[186:187], v[66:67], s[22:23], v[236:237]
	v_fma_f64 v[9:10], v[9:10], s[6:7], v[47:48]
	;; [unrolled: 1-line block ×6, first 2 shown]
	v_add_f64 v[41:42], v[78:79], v[92:93]
	v_fma_f64 v[47:48], v[82:83], s[20:21], v[74:75]
	v_fma_f64 v[49:50], v[247:248], s[6:7], v[80:81]
	v_fma_f64 v[66:67], v[19:20], s[16:17], -v[80:81]
	v_fma_f64 v[78:79], v[84:85], s[22:23], v[86:87]
	v_fma_f64 v[80:81], v[84:85], s[18:19], -v[168:169]
	v_fma_f64 v[19:20], v[19:20], s[14:15], -v[184:185]
	;; [unrolled: 1-line block ×3, first 2 shown]
	v_add_f64 v[64:65], v[170:171], v[21:22]
	v_add_f64 v[84:85], v[162:163], v[21:22]
	v_add_f64 v[21:22], v[31:32], v[21:22]
	v_add_f64 v[86:87], v[94:95], v[33:34]
	v_add_f64 v[35:36], v[35:36], v[33:34]
	v_add_f64 v[33:34], v[37:38], v[33:34]
	v_fma_f64 v[29:30], v[68:69], s[8:9], v[29:30]
	v_fma_f64 v[37:38], v[68:69], s[8:9], v[43:44]
	;; [unrolled: 1-line block ×3, first 2 shown]
	v_add_f64 v[9:10], v[9:10], v[17:18]
	v_fma_f64 v[6:7], v[7:8], s[8:9], v[11:12]
	v_add_f64 v[31:32], v[58:59], v[45:46]
	v_add_f64 v[43:44], v[27:28], v[110:111]
	v_add_f64 v[17:18], v[110:111], -v[27:28]
	v_add_f64 v[11:12], v[13:14], -v[25:26]
	v_add_f64 v[13:14], v[25:26], v[13:14]
	v_add_f64 v[27:28], v[49:50], v[47:48]
	;; [unrolled: 1-line block ×3, first 2 shown]
	v_fma_f64 v[66:67], v[41:42], s[8:9], v[78:79]
	v_fma_f64 v[68:69], v[41:42], s[8:9], v[80:81]
	v_add_f64 v[19:20], v[19:20], v[47:48]
	v_fma_f64 v[41:42], v[41:42], s[8:9], v[82:83]
	v_add_f64 v[25:26], v[160:161], v[64:65]
	v_add_f64 v[47:48], v[39:40], v[84:85]
	v_add_f64 v[78:79], v[21:22], -v[4:5]
	v_add_f64 v[4:5], v[4:5], v[21:22]
	v_add_f64 v[21:22], v[84:85], -v[39:40]
	v_add_f64 v[39:40], v[45:46], -v[58:59]
	;; [unrolled: 1-line block ×3, first 2 shown]
	v_add_f64 v[64:65], v[29:30], v[33:34]
	v_add_f64 v[80:81], v[35:36], -v[37:38]
	v_add_f64 v[35:36], v[37:38], v[35:36]
	v_add_f64 v[29:30], v[33:34], -v[29:30]
	v_add_f64 v[58:59], v[92:93], v[86:87]
	v_add_f64 v[33:34], v[6:7], v[9:10]
	;; [unrolled: 1-line block ×3, first 2 shown]
	v_add_f64 v[15:16], v[15:16], -v[51:52]
	v_add_f64 v[37:38], v[86:87], -v[92:93]
	v_add_f64 v[6:7], v[9:10], -v[6:7]
	ds_write2_b64 v0, v[70:71], v[31:32] offset1:1
	ds_write2_b64 v0, v[43:44], v[11:12] offset0:2 offset1:3
	ds_write2_b64 v0, v[13:14], v[17:18] offset0:4 offset1:5
	v_add_f64 v[8:9], v[66:67], v[27:28]
	v_add_f64 v[10:11], v[68:69], v[49:50]
	v_add_f64 v[236:237], v[27:28], -v[66:67]
	v_add_f64 v[12:13], v[19:20], -v[41:42]
	v_add_f64 v[17:18], v[41:42], v[19:20]
	v_add_f64 v[19:20], v[49:50], -v[68:69]
	v_add_nc_u32_e32 v1, 0xb28, v0
	ds_write2_b64 v0, v[60:61], v[25:26] offset0:119 offset1:120
	ds_write2_b64 v0, v[47:48], v[78:79] offset0:121 offset1:122
	;; [unrolled: 1-line block ×5, first 2 shown]
	v_add_nc_u32_e32 v4, 0xb48, v0
	v_add_nc_u32_e32 v5, 0x400, v0
	ds_write2_b64 v0, v[64:65], v[80:81] offset0:240 offset1:241
	ds_write2_b64 v0, v[35:36], v[29:30] offset0:242 offset1:243
	ds_write2_b64 v1, v[108:109], v[33:34] offset1:1
	ds_write2_b64 v4, v[23:24], v[15:16] offset1:1
	ds_write2_b64 v5, v[37:38], v[6:7] offset0:116 offset1:235
	v_add_nc_u32_e32 v4, 0xee8, v0
	v_lshlrev_b32_e32 v7, 3, v238
	v_add_nc_u32_e32 v5, 0xef8, v0
	v_add_nc_u32_e32 v6, 0xf08, v0
	ds_write_b64 v0, v[74:75] offset:3808
	s_load_dwordx2 s[2:3], s[2:3], 0x0
	ds_write2_b64 v4, v[8:9], v[10:11] offset1:1
	v_add_nc_u32_e32 v4, v240, v7
	ds_write2_b64 v5, v[12:13], v[17:18] offset1:1
	ds_write2_b64 v6, v[19:20], v[236:237] offset1:1
	buffer_store_dword v239, off, s[60:63], 0 offset:4 ; 4-byte Folded Spill
	v_add3_u32 v239, 0, v7, v239
	s_waitcnt lgkmcnt(0)
	s_waitcnt_vscnt null, 0x0
	s_barrier
	buffer_gl0_inv
	buffer_store_dword v4, off, s[60:63], 0 ; 4-byte Folded Spill
	v_add_nc_u32_e32 v74, 0x800, v239
	v_add_nc_u32_e32 v75, 0xc00, v239
	;; [unrolled: 1-line block ×3, first 2 shown]
	ds_read_b64 v[250:251], v4
	ds_read_b64 v[254:255], v239 offset:4616
	ds_read2_b64 v[4:7], v239 offset0:17 offset1:35
	ds_read2_b64 v[192:195], v239 offset0:52 offset1:70
	;; [unrolled: 1-line block ×16, first 2 shown]
	v_add_nc_u32_e32 v242, 0x3b8, v0
	v_add_nc_u32_e32 v241, 0x770, v0
	;; [unrolled: 1-line block ×3, first 2 shown]
	v_cmp_eq_u32_e64 s0, 0, v238
                                        ; implicit-def: $vgpr252_vgpr253
                                        ; implicit-def: $vgpr10_vgpr11
                                        ; implicit-def: $vgpr14_vgpr15
                                        ; implicit-def: $vgpr18_vgpr19
                                        ; implicit-def: $vgpr22_vgpr23
                                        ; implicit-def: $vgpr26_vgpr27
                                        ; implicit-def: $vgpr30_vgpr31
                                        ; implicit-def: $vgpr38_vgpr39
                                        ; implicit-def: $vgpr34_vgpr35
	s_and_saveexec_b32 s1, s0
	s_cbranch_execz .LBB0_14
; %bb.13:
	v_add_nc_u32_e32 v8, 0x400, v240
	v_add_nc_u32_e32 v9, 0x800, v240
	ds_read2_b64 v[32:35], v240 offset0:34 offset1:69
	v_add_nc_u32_e32 v10, 0x1000, v240
	ds_read2_b64 v[36:39], v240 offset0:104 offset1:139
	ds_read2_b64 v[28:31], v240 offset0:174 offset1:209
	ds_read2_b64 v[24:27], v8 offset0:116 offset1:151
	ds_read2_b64 v[20:23], v9 offset0:58 offset1:93
	ds_read2_b64 v[16:19], v9 offset0:128 offset1:163
	ds_read2_b64 v[12:15], v9 offset0:198 offset1:233
	ds_read2_b64 v[8:11], v10 offset0:12 offset1:47
	ds_read_b64 v[252:253], v240 offset:4752
	s_waitcnt lgkmcnt(8)
	v_mov_b32_e32 v237, v33
	v_mov_b32_e32 v236, v32
.LBB0_14:
	s_or_b32 exec_lo, exec_lo, s1
	v_add_f64 v[32:33], v[230:231], v[174:175]
	v_add_f64 v[174:175], v[226:227], v[210:211]
	v_add_f64 v[172:173], v[172:173], -v[228:229]
	v_add_f64 v[208:209], v[208:209], -v[224:225]
	v_add_f64 v[210:211], v[222:223], v[214:215]
	v_add_f64 v[212:213], v[220:221], -v[212:213]
	v_add_f64 v[138:139], v[218:219], v[138:139]
	v_add_f64 v[190:191], v[206:207], v[190:191]
	v_add_f64 v[96:97], v[104:105], -v[96:97]
	v_add_f64 v[104:105], v[182:183], v[154:155]
	v_add_f64 v[154:155], v[176:177], -v[164:165]
	v_add_f64 v[136:137], v[136:137], -v[216:217]
	;; [unrolled: 1-line block ×3, first 2 shown]
	v_add_f64 v[198:199], v[198:199], v[202:203]
	v_add_f64 v[196:197], v[196:197], -v[200:201]
	v_add_f64 v[98:99], v[98:99], v[106:107]
	v_add_f64 v[126:127], v[158:159], v[126:127]
	;; [unrolled: 1-line block ×3, first 2 shown]
	v_add_f64 v[120:121], v[120:121], -v[148:149]
	v_add_f64 v[140:141], v[144:145], -v[140:141]
	v_add_f64 v[90:91], v[134:135], v[90:91]
	v_add_f64 v[102:103], v[130:131], v[102:103]
	;; [unrolled: 1-line block ×4, first 2 shown]
	v_add_f64 v[112:113], v[116:117], -v[112:113]
	v_add_f64 v[116:117], v[174:175], -v[32:33]
	;; [unrolled: 1-line block ×6, first 2 shown]
	v_add_f64 v[144:145], v[190:191], v[138:139]
	v_add_f64 v[106:107], v[152:153], -v[180:181]
	v_add_f64 v[152:153], v[178:179], v[166:167]
	v_add_f64 v[124:125], v[124:125], -v[156:157]
	;; [unrolled: 2-line block ×3, first 2 shown]
	v_add_f64 v[100:101], v[100:101], -v[128:129]
	v_add_f64 v[128:129], v[212:213], v[208:209]
	v_add_f64 v[132:133], v[172:173], -v[212:213]
	v_add_f64 v[146:147], v[190:191], -v[138:139]
	;; [unrolled: 1-line block ×3, first 2 shown]
	v_add_f64 v[156:157], v[196:197], v[188:189]
	v_add_f64 v[158:159], v[196:197], -v[188:189]
	v_add_f64 v[174:175], v[104:105], v[98:99]
	v_add_f64 v[182:183], v[122:123], v[126:127]
	;; [unrolled: 1-line block ×3, first 2 shown]
	v_add_f64 v[164:165], v[136:137], -v[196:197]
	v_add_f64 v[202:203], v[102:103], v[90:91]
	v_mul_f64 v[32:33], v[32:33], s[24:25]
	v_mul_f64 v[196:197], v[118:119], s[6:7]
	;; [unrolled: 1-line block ×4, first 2 shown]
	v_add_f64 v[144:145], v[198:199], v[144:145]
	v_add_f64 v[138:139], v[138:139], -v[198:199]
	v_add_f64 v[166:167], v[188:189], -v[136:137]
	;; [unrolled: 1-line block ×5, first 2 shown]
	v_add_f64 v[178:179], v[154:155], v[106:107]
	v_add_f64 v[180:181], v[154:155], -v[106:107]
	v_add_f64 v[106:107], v[106:107], -v[96:97]
	;; [unrolled: 1-line block ×5, first 2 shown]
	v_add_f64 v[198:199], v[140:141], v[120:121]
	v_add_f64 v[200:201], v[140:141], -v[120:121]
	v_add_f64 v[120:121], v[120:121], -v[124:125]
	v_add_f64 v[72:73], v[72:73], v[148:149]
	v_add_f64 v[204:205], v[102:103], -v[90:91]
	v_add_f64 v[90:91], v[90:91], -v[114:115]
	;; [unrolled: 1-line block ×4, first 2 shown]
	v_add_f64 v[128:129], v[128:129], v[172:173]
	v_mul_f64 v[172:173], v[150:151], s[6:7]
	v_add_f64 v[152:153], v[152:153], v[174:175]
	v_fma_f64 v[118:119], v[118:119], s[6:7], v[32:33]
	v_fma_f64 v[174:175], v[132:133], s[22:23], v[130:131]
	v_fma_f64 v[130:131], v[134:135], s[4:5], -v[130:131]
	v_add_f64 v[62:63], v[62:63], v[144:145]
	v_fma_f64 v[132:133], v[132:133], s[18:19], -v[190:191]
	v_fma_f64 v[32:33], v[116:117], s[16:17], -v[32:33]
	;; [unrolled: 1-line block ×3, first 2 shown]
	v_add_f64 v[142:143], v[142:143], v[182:183]
	v_add_f64 v[114:115], v[114:115], v[202:203]
	;; [unrolled: 1-line block ×3, first 2 shown]
	v_add_f64 v[100:101], v[100:101], -v[88:89]
	v_add_f64 v[154:155], v[96:97], -v[154:155]
	;; [unrolled: 1-line block ×3, first 2 shown]
	v_mul_f64 v[138:139], v[138:139], s[24:25]
	v_fma_f64 v[134:135], v[148:149], s[20:21], v[72:73]
	v_add_f64 v[112:113], v[88:89], -v[112:113]
	v_add_f64 v[136:137], v[156:157], v[136:137]
	v_mul_f64 v[148:149], v[158:159], s[26:27]
	v_mul_f64 v[156:157], v[166:167], s[4:5]
	v_add_f64 v[96:97], v[178:179], v[96:97]
	v_mul_f64 v[98:99], v[98:99], s[24:25]
	v_mul_f64 v[158:159], v[104:105], s[6:7]
	;; [unrolled: 1-line block ×4, first 2 shown]
	v_fma_f64 v[172:173], v[146:147], s[14:15], -v[172:173]
	v_add_f64 v[56:57], v[56:57], v[152:153]
	v_fma_f64 v[174:175], v[128:129], s[8:9], v[174:175]
	v_fma_f64 v[130:131], v[128:129], s[8:9], v[130:131]
	;; [unrolled: 1-line block ×4, first 2 shown]
	v_mul_f64 v[126:127], v[126:127], s[24:25]
	v_mul_f64 v[132:133], v[122:123], s[6:7]
	;; [unrolled: 1-line block ×6, first 2 shown]
	v_add_f64 v[118:119], v[118:119], v[134:135]
	v_add_f64 v[32:33], v[32:33], v[134:135]
	;; [unrolled: 1-line block ×3, first 2 shown]
	v_mul_f64 v[134:135], v[200:201], s[26:27]
	v_add_f64 v[2:3], v[2:3], v[142:143]
	v_add_f64 v[76:77], v[76:77], v[114:115]
	v_mul_f64 v[200:201], v[100:101], s[4:5]
	v_fma_f64 v[150:151], v[150:151], s[6:7], v[138:139]
	v_fma_f64 v[138:139], v[146:147], s[16:17], -v[138:139]
	v_fma_f64 v[146:147], v[164:165], s[22:23], v[148:149]
	v_fma_f64 v[148:149], v[166:167], s[4:5], -v[148:149]
	v_fma_f64 v[156:157], v[164:165], s[18:19], -v[156:157]
	v_fma_f64 v[104:105], v[104:105], s[6:7], v[98:99]
	v_fma_f64 v[158:159], v[176:177], s[14:15], -v[158:159]
	v_fma_f64 v[152:153], v[152:153], s[20:21], v[56:57]
	v_add_f64 v[164:165], v[172:173], v[144:145]
	v_fma_f64 v[98:99], v[176:177], s[16:17], -v[98:99]
	v_fma_f64 v[106:107], v[106:107], s[4:5], -v[178:179]
	v_add_f64 v[124:125], v[198:199], v[124:125]
	v_fma_f64 v[122:123], v[122:123], s[6:7], v[126:127]
	v_fma_f64 v[132:133], v[188:189], s[14:15], -v[132:133]
	v_fma_f64 v[126:127], v[188:189], s[16:17], -v[126:127]
	v_add_f64 v[88:89], v[206:207], v[88:89]
	v_add_f64 v[172:173], v[32:33], -v[128:129]
	v_add_f64 v[202:203], v[130:131], v[116:117]
	v_add_f64 v[116:117], v[116:117], -v[130:131]
	v_add_f64 v[32:33], v[128:129], v[32:33]
	v_fma_f64 v[128:129], v[154:155], s[22:23], v[178:179]
	v_fma_f64 v[130:131], v[154:155], s[18:19], -v[180:181]
	v_fma_f64 v[142:143], v[142:143], s[20:21], v[2:3]
	v_fma_f64 v[154:155], v[140:141], s[22:23], v[134:135]
	v_fma_f64 v[120:121], v[120:121], s[4:5], -v[134:135]
	v_fma_f64 v[134:135], v[140:141], s[18:19], -v[182:183]
	v_fma_f64 v[114:115], v[114:115], s[20:21], v[76:77]
	v_fma_f64 v[102:103], v[102:103], s[6:7], v[90:91]
	v_fma_f64 v[140:141], v[204:205], s[14:15], -v[190:191]
	v_fma_f64 v[90:91], v[204:205], s[16:17], -v[90:91]
	v_fma_f64 v[176:177], v[112:113], s[22:23], v[196:197]
	v_fma_f64 v[112:113], v[112:113], s[18:19], -v[200:201]
	v_fma_f64 v[100:101], v[100:101], s[4:5], -v[196:197]
	v_add_f64 v[150:151], v[150:151], v[144:145]
	v_add_f64 v[138:139], v[138:139], v[144:145]
	v_fma_f64 v[144:145], v[136:137], s[8:9], v[146:147]
	v_fma_f64 v[146:147], v[136:137], s[8:9], v[156:157]
	;; [unrolled: 1-line block ×3, first 2 shown]
	v_add_f64 v[148:149], v[158:159], v[152:153]
	v_add_f64 v[98:99], v[98:99], v[152:153]
	;; [unrolled: 1-line block ×3, first 2 shown]
	v_add_f64 v[166:167], v[118:119], -v[174:175]
	v_fma_f64 v[128:129], v[96:97], s[8:9], v[128:129]
	v_fma_f64 v[130:131], v[96:97], s[8:9], v[130:131]
	;; [unrolled: 1-line block ×3, first 2 shown]
	v_add_f64 v[106:107], v[122:123], v[142:143]
	v_add_f64 v[122:123], v[132:133], v[142:143]
	;; [unrolled: 1-line block ×3, first 2 shown]
	v_fma_f64 v[132:133], v[124:125], s[8:9], v[154:155]
	v_fma_f64 v[134:135], v[124:125], s[8:9], v[134:135]
	;; [unrolled: 1-line block ×3, first 2 shown]
	v_add_f64 v[102:103], v[102:103], v[114:115]
	v_add_f64 v[124:125], v[140:141], v[114:115]
	;; [unrolled: 1-line block ×3, first 2 shown]
	v_fma_f64 v[114:115], v[88:89], s[8:9], v[176:177]
	v_fma_f64 v[112:113], v[88:89], s[8:9], v[112:113]
	;; [unrolled: 1-line block ×3, first 2 shown]
	v_add_f64 v[100:101], v[174:175], v[118:119]
	v_add_f64 v[118:119], v[150:151], -v[144:145]
	v_add_f64 v[144:145], v[144:145], v[150:151]
	v_add_f64 v[140:141], v[138:139], -v[146:147]
	;; [unrolled: 2-line block ×4, first 2 shown]
	v_add_f64 v[150:151], v[98:99], -v[130:131]
	v_add_f64 v[152:153], v[96:97], v[148:149]
	v_add_f64 v[96:97], v[148:149], -v[96:97]
	v_add_f64 v[98:99], v[130:131], v[98:99]
	v_add_f64 v[104:105], v[128:129], v[104:105]
	v_add_f64 v[128:129], v[106:107], -v[132:133]
	v_add_f64 v[130:131], v[126:127], -v[134:135]
	v_add_f64 v[148:149], v[120:121], v[122:123]
	v_add_f64 v[120:121], v[122:123], -v[120:121]
	v_add_f64 v[122:123], v[134:135], v[126:127]
	v_add_f64 v[106:107], v[132:133], v[106:107]
	v_add_f64 v[126:127], v[102:103], -v[114:115]
	v_add_f64 v[102:103], v[114:115], v[102:103]
	v_add_f64 v[132:133], v[90:91], -v[112:113]
	;; [unrolled: 2-line block ×3, first 2 shown]
	s_waitcnt lgkmcnt(0)
	s_waitcnt_vscnt null, 0x0
	s_barrier
	buffer_gl0_inv
	ds_write2_b64 v0, v[72:73], v[166:167] offset1:1
	ds_write2_b64 v0, v[172:173], v[202:203] offset0:2 offset1:3
	ds_write2_b64 v0, v[116:117], v[32:33] offset0:4 offset1:5
	ds_write_b64 v0, v[100:101] offset:48
	ds_write2_b64 v242, v[62:63], v[118:119] offset1:1
	ds_write2_b64 v242, v[140:141], v[142:143] offset0:2 offset1:3
	ds_write2_b64 v242, v[136:137], v[138:139] offset0:4 offset1:5
	ds_write_b64 v242, v[144:145] offset:48
	;; [unrolled: 4-line block ×4, first 2 shown]
	ds_write_b64 v79, v[76:77]
	ds_write2_b64 v79, v[126:127], v[132:133] offset0:1 offset1:2
	ds_write2_b64 v79, v[134:135], v[88:89] offset0:3 offset1:4
	buffer_store_dword v102, off, s[60:63], 0 offset:480 ; 4-byte Folded Spill
	buffer_store_dword v103, off, s[60:63], 0 offset:484 ; 4-byte Folded Spill
	v_add_f64 v[90:91], v[112:113], v[90:91]
                                        ; implicit-def: $vgpr98_vgpr99
                                        ; implicit-def: $vgpr106_vgpr107
                                        ; implicit-def: $vgpr118_vgpr119
                                        ; implicit-def: $vgpr114_vgpr115
	ds_write2_b64 v79, v[90:91], v[102:103] offset0:5 offset1:6
	s_waitcnt lgkmcnt(0)
	s_waitcnt_vscnt null, 0x0
	s_barrier
	buffer_gl0_inv
	ds_read2_b64 v[0:3], v239 offset0:17 offset1:35
	ds_read2_b64 v[188:191], v239 offset0:52 offset1:70
	;; [unrolled: 1-line block ×16, first 2 shown]
	buffer_load_dword v32, off, s[60:63], 0 ; 4-byte Folded Reload
                                        ; implicit-def: $vgpr74_vgpr75
                                        ; implicit-def: $vgpr78_vgpr79
                                        ; implicit-def: $vgpr90_vgpr91
                                        ; implicit-def: $vgpr102_vgpr103
	s_waitcnt vmcnt(0)
	ds_read_b64 v[196:197], v32
	ds_read_b64 v[56:57], v239 offset:4616
                                        ; implicit-def: $vgpr32_vgpr33
	s_and_saveexec_b32 s1, s0
	s_cbranch_execz .LBB0_16
; %bb.15:
	v_add_nc_u32_e32 v32, 0x400, v240
	v_add_nc_u32_e32 v33, 0x800, v240
	ds_read2_b64 v[112:115], v240 offset0:34 offset1:69
	v_add_nc_u32_e32 v62, 0x1000, v240
	ds_read2_b64 v[116:119], v240 offset0:104 offset1:139
	ds_read2_b64 v[104:107], v240 offset0:174 offset1:209
	;; [unrolled: 1-line block ×7, first 2 shown]
	ds_read_b64 v[32:33], v240 offset:4752
	s_waitcnt lgkmcnt(8)
	v_mov_b32_e32 v62, v112
	v_mov_b32_e32 v63, v113
	buffer_store_dword v62, off, s[60:63], 0 offset:480 ; 4-byte Folded Spill
	buffer_store_dword v63, off, s[60:63], 0 offset:484 ; 4-byte Folded Spill
.LBB0_16:
	s_or_b32 exec_lo, exec_lo, s1
	v_and_b32_e32 v62, 0xff, v238
	v_mov_b32_e32 v198, 8
	v_add_nc_u32_e32 v221, 17, v238
	v_add_nc_u32_e32 v222, 34, v238
	s_mov_b32 s4, 0x5d8e7cdc
	v_mul_lo_u16 v62, v62, 37
	s_mov_b32 s8, 0x2a9d6da3
	s_mov_b32 s14, 0x7c9e640b
	;; [unrolled: 1-line block ×4, first 2 shown]
	v_lshrrev_b16 v62, 8, v62
	s_mov_b32 s24, 0x6c9a05f6
	s_mov_b32 s28, 0x4363dd80
	;; [unrolled: 1-line block ×4, first 2 shown]
	v_sub_nc_u16 v63, v238, v62
	s_mov_b32 s9, 0xbfe58eea
	s_mov_b32 s15, 0xbfeca52d
	;; [unrolled: 1-line block ×4, first 2 shown]
	v_lshrrev_b16 v63, 1, v63
	s_mov_b32 s25, 0xbfe9895b
	s_mov_b32 s29, 0xbfe0d888
	;; [unrolled: 1-line block ×4, first 2 shown]
	v_and_b32_e32 v63, 0x7f, v63
	s_mov_b32 s16, 0x75d4884
	s_mov_b32 s18, 0x2b2883cd
	;; [unrolled: 1-line block ×4, first 2 shown]
	v_add_nc_u16 v62, v63, v62
	s_mov_b32 s36, 0x6ed5f1bb
	s_mov_b32 s38, 0x910ea3b9
	;; [unrolled: 1-line block ×4, first 2 shown]
	v_lshrrev_b16 v62, 2, v62
	s_mov_b32 s17, 0x3fe7a5f6
	s_mov_b32 s19, 0x3fdc86fa
	;; [unrolled: 1-line block ×4, first 2 shown]
	buffer_store_dword v62, off, s[60:63], 0 offset:488 ; 4-byte Folded Spill
	v_mul_lo_u16 v62, v62, 7
	s_mov_b32 s37, 0xbfe348c8
	s_mov_b32 s39, 0xbfeb34fa
	;; [unrolled: 1-line block ×4, first 2 shown]
	v_sub_nc_u16 v227, v238, v62
	s_mov_b32 s44, s28
	s_mov_b32 s43, 0x3feec746
	;; [unrolled: 1-line block ×4, first 2 shown]
	v_lshlrev_b32_sdwa v220, v198, v227 dst_sel:DWORD dst_unused:UNUSED_PAD src0_sel:DWORD src1_sel:BYTE_0
	s_mov_b32 s46, s14
	s_mov_b32 s49, 0x3fd71e95
	;; [unrolled: 1-line block ×3, first 2 shown]
	s_clause 0x3
	global_load_dwordx4 v[199:202], v220, s[12:13] offset:48
	global_load_dwordx4 v[203:206], v220, s[12:13] offset:32
	;; [unrolled: 1-line block ×3, first 2 shown]
	global_load_dwordx4 v[211:214], v220, s[12:13]
	s_mov_b32 s51, 0x3fc7851a
	s_mov_b32 s50, s34
	;; [unrolled: 1-line block ×8, first 2 shown]
	s_waitcnt vmcnt(0) lgkmcnt(17)
	v_mul_f64 v[215:216], v[2:3], v[213:214]
	v_fma_f64 v[240:241], v[6:7], v[211:212], v[215:216]
	v_mul_f64 v[6:7], v[6:7], v[213:214]
	v_fma_f64 v[225:226], v[2:3], v[211:212], -v[6:7]
	s_waitcnt lgkmcnt(16)
	v_mul_f64 v[2:3], v[190:191], v[209:210]
	v_mul_f64 v[6:7], v[186:187], v[205:206]
	v_fma_f64 v[62:63], v[194:195], v[207:208], v[2:3]
	v_mul_f64 v[2:3], v[194:195], v[209:210]
	s_waitcnt lgkmcnt(15)
	v_fma_f64 v[223:224], v[182:183], v[203:204], -v[6:7]
	s_waitcnt lgkmcnt(14)
	v_mul_f64 v[6:7], v[178:179], v[201:202]
	v_fma_f64 v[194:195], v[190:191], v[207:208], -v[2:3]
	v_mul_f64 v[2:3], v[182:183], v[205:206]
	v_fma_f64 v[182:183], v[170:171], v[199:200], v[6:7]
	v_mul_f64 v[6:7], v[170:171], v[201:202]
	v_fma_f64 v[2:3], v[186:187], v[203:204], v[2:3]
	v_fma_f64 v[230:231], v[178:179], v[199:200], -v[6:7]
	s_clause 0x3
	global_load_dwordx4 v[199:202], v220, s[12:13] offset:112
	global_load_dwordx4 v[203:206], v220, s[12:13] offset:96
	;; [unrolled: 1-line block ×4, first 2 shown]
	s_waitcnt vmcnt(0) lgkmcnt(13)
	v_mul_f64 v[6:7], v[174:175], v[218:219]
	v_fma_f64 v[170:171], v[162:163], v[216:217], v[6:7]
	v_mul_f64 v[6:7], v[162:163], v[218:219]
	v_fma_f64 v[228:229], v[174:175], v[216:217], -v[6:7]
	s_waitcnt lgkmcnt(12)
	v_mul_f64 v[6:7], v[166:167], v[214:215]
	v_fma_f64 v[218:219], v[110:111], v[212:213], v[6:7]
	v_mul_f64 v[6:7], v[110:111], v[214:215]
	v_fma_f64 v[6:7], v[166:167], v[212:213], -v[6:7]
	buffer_store_dword v6, off, s[60:63], 0 offset:492 ; 4-byte Folded Spill
	buffer_store_dword v7, off, s[60:63], 0 offset:496 ; 4-byte Folded Spill
	s_waitcnt lgkmcnt(11)
	v_mul_f64 v[6:7], v[158:159], v[205:206]
	v_fma_f64 v[190:191], v[94:95], v[203:204], v[6:7]
	v_mul_f64 v[6:7], v[94:95], v[205:206]
	v_fma_f64 v[162:163], v[158:159], v[203:204], -v[6:7]
	s_waitcnt lgkmcnt(10)
	v_mul_f64 v[6:7], v[154:155], v[201:202]
	v_fma_f64 v[94:95], v[86:87], v[199:200], v[6:7]
	v_mul_f64 v[6:7], v[86:87], v[201:202]
	v_fma_f64 v[6:7], v[154:155], v[199:200], -v[6:7]
	buffer_store_dword v6, off, s[60:63], 0 offset:500 ; 4-byte Folded Spill
	buffer_store_dword v7, off, s[60:63], 0 offset:504 ; 4-byte Folded Spill
	s_clause 0x3
	global_load_dwordx4 v[242:245], v220, s[12:13] offset:176
	global_load_dwordx4 v[246:249], v220, s[12:13] offset:160
	;; [unrolled: 1-line block ×4, first 2 shown]
	s_waitcnt vmcnt(0) lgkmcnt(9)
	v_mul_f64 v[6:7], v[150:151], v[204:205]
	v_fma_f64 v[154:155], v[82:83], v[202:203], v[6:7]
	v_mul_f64 v[82:83], v[82:83], v[204:205]
	v_fma_f64 v[166:167], v[150:151], v[202:203], -v[82:83]
	s_waitcnt lgkmcnt(8)
	v_mul_f64 v[82:83], v[146:147], v[216:217]
	v_fma_f64 v[110:111], v[70:71], v[214:215], v[82:83]
	v_mul_f64 v[70:71], v[70:71], v[216:217]
	v_fma_f64 v[216:217], v[146:147], v[214:215], -v[70:71]
	s_waitcnt lgkmcnt(7)
	v_mul_f64 v[70:71], v[142:143], v[248:249]
	v_fma_f64 v[178:179], v[66:67], v[246:247], v[70:71]
	v_mul_f64 v[66:67], v[66:67], v[248:249]
	v_fma_f64 v[150:151], v[142:143], v[246:247], -v[66:67]
	s_clause 0x3
	global_load_dwordx4 v[199:202], v220, s[12:13] offset:240
	global_load_dwordx4 v[203:206], v220, s[12:13] offset:224
	;; [unrolled: 1-line block ×4, first 2 shown]
	s_waitcnt lgkmcnt(6)
	v_mul_f64 v[66:67], v[138:139], v[244:245]
	v_fma_f64 v[142:143], v[60:61], v[242:243], v[66:67]
	v_mul_f64 v[60:61], v[60:61], v[244:245]
	v_fma_f64 v[242:243], v[138:139], v[242:243], -v[60:61]
	s_waitcnt vmcnt(0) lgkmcnt(5)
	v_mul_f64 v[60:61], v[134:135], v[209:210]
	v_fma_f64 v[244:245], v[54:55], v[207:208], v[60:61]
	v_mul_f64 v[54:55], v[54:55], v[209:210]
	v_fma_f64 v[146:147], v[134:135], v[207:208], -v[54:55]
	s_waitcnt lgkmcnt(4)
	v_mul_f64 v[54:55], v[130:131], v[248:249]
	v_fma_f64 v[112:113], v[50:51], v[246:247], v[54:55]
	v_mul_f64 v[50:51], v[50:51], v[248:249]
	s_waitcnt lgkmcnt(3)
	v_mul_f64 v[54:55], v[126:127], v[205:206]
	v_fma_f64 v[186:187], v[130:131], v[246:247], -v[50:51]
	v_fma_f64 v[246:247], v[46:47], v[203:204], v[54:55]
	v_mul_f64 v[46:47], v[46:47], v[205:206]
	v_fma_f64 v[6:7], v[126:127], v[203:204], -v[46:47]
	s_waitcnt lgkmcnt(2)
	v_mul_f64 v[46:47], v[122:123], v[201:202]
	v_fma_f64 v[248:249], v[42:43], v[199:200], v[46:47]
	v_mul_f64 v[42:43], v[42:43], v[201:202]
	v_fma_f64 v[174:175], v[122:123], v[199:200], -v[42:43]
	v_and_b32_e32 v42, 0xff, v221
	v_mul_lo_u16 v42, v42, 37
	v_lshrrev_b16 v42, 8, v42
	v_sub_nc_u16 v43, v221, v42
	v_lshrrev_b16 v43, 1, v43
	v_and_b32_e32 v43, 0x7f, v43
	v_add_nc_u16 v42, v43, v42
	v_lshrrev_b16 v122, 2, v42
	v_mul_lo_u16 v42, v122, 7
	v_sub_nc_u16 v123, v221, v42
	v_lshlrev_b32_sdwa v215, v198, v123 dst_sel:DWORD dst_unused:UNUSED_PAD src0_sel:DWORD src1_sel:BYTE_0
	s_clause 0x3
	global_load_dwordx4 v[199:202], v215, s[12:13] offset:48
	global_load_dwordx4 v[203:206], v215, s[12:13] offset:32
	;; [unrolled: 1-line block ×3, first 2 shown]
	global_load_dwordx4 v[211:214], v215, s[12:13]
	s_waitcnt vmcnt(2)
	v_mul_f64 v[66:67], v[176:177], v[205:206]
	s_waitcnt vmcnt(0)
	v_mul_f64 v[42:43], v[188:189], v[213:214]
	v_fma_f64 v[220:221], v[168:169], v[203:204], v[66:67]
	v_mul_f64 v[66:67], v[168:169], v[205:206]
	v_fma_f64 v[138:139], v[192:193], v[211:212], v[42:43]
	v_mul_f64 v[42:43], v[192:193], v[213:214]
	v_fma_f64 v[54:55], v[176:177], v[203:204], -v[66:67]
	v_mul_f64 v[66:67], v[172:173], v[201:202]
	v_fma_f64 v[192:193], v[188:189], v[211:212], -v[42:43]
	v_mul_f64 v[42:43], v[180:181], v[209:210]
	v_fma_f64 v[188:189], v[160:161], v[199:200], v[66:67]
	v_mul_f64 v[66:67], v[160:161], v[201:202]
	v_fma_f64 v[50:51], v[184:185], v[207:208], v[42:43]
	v_mul_f64 v[42:43], v[184:185], v[209:210]
	v_fma_f64 v[212:213], v[172:173], v[199:200], -v[66:67]
	v_fma_f64 v[134:135], v[180:181], v[207:208], -v[42:43]
	s_clause 0x3
	global_load_dwordx4 v[158:161], v215, s[12:13] offset:112
	global_load_dwordx4 v[199:202], v215, s[12:13] offset:96
	;; [unrolled: 1-line block ×4, first 2 shown]
	s_waitcnt vmcnt(0)
	v_mul_f64 v[66:67], v[164:165], v[209:210]
	v_fma_f64 v[42:43], v[108:109], v[207:208], v[66:67]
	v_mul_f64 v[66:67], v[108:109], v[209:210]
	v_fma_f64 v[46:47], v[164:165], v[207:208], -v[66:67]
	v_mul_f64 v[66:67], v[156:157], v[205:206]
	v_fma_f64 v[130:131], v[92:93], v[203:204], v[66:67]
	v_mul_f64 v[66:67], v[92:93], v[205:206]
	v_fma_f64 v[60:61], v[156:157], v[203:204], -v[66:67]
	;; [unrolled: 4-line block ×4, first 2 shown]
	s_clause 0x3
	global_load_dwordx4 v[80:83], v215, s[12:13] offset:176
	global_load_dwordx4 v[84:87], v215, s[12:13] offset:160
	;; [unrolled: 1-line block ×4, first 2 shown]
	s_waitcnt vmcnt(0)
	v_mul_f64 v[66:67], v[144:145], v[210:211]
	v_fma_f64 v[66:67], v[68:69], v[208:209], v[66:67]
	v_mul_f64 v[68:69], v[68:69], v[210:211]
	v_fma_f64 v[144:145], v[144:145], v[208:209], -v[68:69]
	v_mul_f64 v[68:69], v[140:141], v[158:159]
	v_fma_f64 v[201:202], v[64:65], v[156:157], v[68:69]
	v_mul_f64 v[64:65], v[64:65], v[158:159]
	v_mul_f64 v[68:69], v[136:137], v[86:87]
	v_fma_f64 v[140:141], v[140:141], v[156:157], -v[64:65]
	v_fma_f64 v[64:65], v[58:59], v[84:85], v[68:69]
	v_mul_f64 v[58:59], v[58:59], v[86:87]
	v_mul_f64 v[68:69], v[132:133], v[82:83]
	v_fma_f64 v[58:59], v[136:137], v[84:85], -v[58:59]
	v_fma_f64 v[136:137], v[52:53], v[80:81], v[68:69]
	v_mul_f64 v[52:53], v[52:53], v[82:83]
	v_fma_f64 v[52:53], v[132:133], v[80:81], -v[52:53]
	s_clause 0x3
	global_load_dwordx4 v[68:71], v215, s[12:13] offset:240
	global_load_dwordx4 v[80:83], v215, s[12:13] offset:224
	global_load_dwordx4 v[84:87], v215, s[12:13] offset:208
	global_load_dwordx4 v[156:159], v215, s[12:13] offset:192
	s_waitcnt vmcnt(0)
	v_mul_f64 v[92:93], v[128:129], v[158:159]
	v_fma_f64 v[148:149], v[48:49], v[156:157], v[92:93]
	v_mul_f64 v[92:93], v[124:125], v[86:87]
	v_mul_f64 v[48:49], v[48:49], v[158:159]
	v_fma_f64 v[152:153], v[44:45], v[84:85], v[92:93]
	v_mul_f64 v[44:45], v[44:45], v[86:87]
	v_fma_f64 v[48:49], v[128:129], v[156:157], -v[48:49]
	v_fma_f64 v[44:45], v[124:125], v[84:85], -v[44:45]
	v_mul_f64 v[84:85], v[120:121], v[82:83]
	v_fma_f64 v[156:157], v[40:41], v[80:81], v[84:85]
	v_mul_f64 v[40:41], v[40:41], v[82:83]
	v_fma_f64 v[158:159], v[120:121], v[80:81], -v[40:41]
	s_waitcnt lgkmcnt(0)
	v_mul_f64 v[40:41], v[56:57], v[70:71]
	v_fma_f64 v[160:161], v[254:255], v[68:69], v[40:41]
	v_mul_f64 v[40:41], v[254:255], v[70:71]
	v_fma_f64 v[40:41], v[56:57], v[68:69], -v[40:41]
	v_and_b32_e32 v56, 0xff, v222
	v_mul_lo_u16 v56, v56, 37
	v_lshrrev_b16 v56, 8, v56
	v_sub_nc_u16 v57, v222, v56
	v_lshrrev_b16 v57, 1, v57
	v_and_b32_e32 v57, 0x7f, v57
	v_add_nc_u16 v56, v57, v56
	v_lshrrev_b16 v56, 2, v56
	v_mul_lo_u16 v56, v56, 7
	v_sub_nc_u16 v120, v222, v56
	v_lshlrev_b32_sdwa v92, v198, v120 dst_sel:DWORD dst_unused:UNUSED_PAD src0_sel:DWORD src1_sel:BYTE_0
	s_clause 0x3
	global_load_dwordx4 v[68:71], v92, s[12:13] offset:48
	global_load_dwordx4 v[80:83], v92, s[12:13] offset:32
	;; [unrolled: 1-line block ×3, first 2 shown]
	global_load_dwordx4 v[208:211], v92, s[12:13]
	s_waitcnt vmcnt(0)
	v_mul_f64 v[56:57], v[114:115], v[210:211]
	v_fma_f64 v[56:57], v[34:35], v[208:209], v[56:57]
	v_mul_f64 v[34:35], v[34:35], v[210:211]
	buffer_store_dword v56, off, s[60:63], 0 offset:248 ; 4-byte Folded Spill
	buffer_store_dword v57, off, s[60:63], 0 offset:252 ; 4-byte Folded Spill
	v_fma_f64 v[34:35], v[114:115], v[208:209], -v[34:35]
	buffer_store_dword v34, off, s[60:63], 0 offset:88 ; 4-byte Folded Spill
	buffer_store_dword v35, off, s[60:63], 0 offset:92 ; 4-byte Folded Spill
	v_mul_f64 v[34:35], v[116:117], v[86:87]
	v_fma_f64 v[34:35], v[36:37], v[84:85], v[34:35]
	buffer_store_dword v34, off, s[60:63], 0 offset:144 ; 4-byte Folded Spill
	buffer_store_dword v35, off, s[60:63], 0 offset:148 ; 4-byte Folded Spill
	v_mul_f64 v[34:35], v[36:37], v[86:87]
	v_fma_f64 v[34:35], v[116:117], v[84:85], -v[34:35]
	buffer_store_dword v34, off, s[60:63], 0 offset:96 ; 4-byte Folded Spill
	buffer_store_dword v35, off, s[60:63], 0 offset:100 ; 4-byte Folded Spill
	v_mul_f64 v[34:35], v[118:119], v[82:83]
	v_fma_f64 v[34:35], v[38:39], v[80:81], v[34:35]
	buffer_store_dword v34, off, s[60:63], 0 offset:152 ; 4-byte Folded Spill
	buffer_store_dword v35, off, s[60:63], 0 offset:156 ; 4-byte Folded Spill
	v_mul_f64 v[34:35], v[38:39], v[82:83]
	v_fma_f64 v[34:35], v[118:119], v[80:81], -v[34:35]
	buffer_store_dword v34, off, s[60:63], 0 offset:56 ; 4-byte Folded Spill
	buffer_store_dword v35, off, s[60:63], 0 offset:60 ; 4-byte Folded Spill
	v_mul_f64 v[34:35], v[104:105], v[70:71]
	v_fma_f64 v[34:35], v[28:29], v[68:69], v[34:35]
	v_mul_f64 v[28:29], v[28:29], v[70:71]
	buffer_store_dword v34, off, s[60:63], 0 offset:160 ; 4-byte Folded Spill
	buffer_store_dword v35, off, s[60:63], 0 offset:164 ; 4-byte Folded Spill
	v_fma_f64 v[28:29], v[104:105], v[68:69], -v[28:29]
	buffer_store_dword v28, off, s[60:63], 0 offset:48 ; 4-byte Folded Spill
	buffer_store_dword v29, off, s[60:63], 0 offset:52 ; 4-byte Folded Spill
	s_clause 0x3
	global_load_dwordx4 v[34:37], v92, s[12:13] offset:112
	global_load_dwordx4 v[68:71], v92, s[12:13] offset:96
	global_load_dwordx4 v[80:83], v92, s[12:13] offset:80
	global_load_dwordx4 v[84:87], v92, s[12:13] offset:64
	s_waitcnt vmcnt(0)
	v_mul_f64 v[28:29], v[106:107], v[86:87]
	v_fma_f64 v[28:29], v[30:31], v[84:85], v[28:29]
	buffer_store_dword v28, off, s[60:63], 0 offset:176 ; 4-byte Folded Spill
	buffer_store_dword v29, off, s[60:63], 0 offset:180 ; 4-byte Folded Spill
	v_mul_f64 v[28:29], v[30:31], v[86:87]
	v_fma_f64 v[28:29], v[106:107], v[84:85], -v[28:29]
	buffer_store_dword v28, off, s[60:63], 0 offset:64 ; 4-byte Folded Spill
	buffer_store_dword v29, off, s[60:63], 0 offset:68 ; 4-byte Folded Spill
	v_mul_f64 v[28:29], v[100:101], v[82:83]
	v_fma_f64 v[28:29], v[24:25], v[80:81], v[28:29]
	v_mul_f64 v[24:25], v[24:25], v[82:83]
	buffer_store_dword v28, off, s[60:63], 0 offset:184 ; 4-byte Folded Spill
	buffer_store_dword v29, off, s[60:63], 0 offset:188 ; 4-byte Folded Spill
	v_fma_f64 v[24:25], v[100:101], v[80:81], -v[24:25]
	buffer_store_dword v24, off, s[60:63], 0 offset:80 ; 4-byte Folded Spill
	buffer_store_dword v25, off, s[60:63], 0 offset:84 ; 4-byte Folded Spill
	v_mul_f64 v[24:25], v[102:103], v[70:71]
	v_fma_f64 v[24:25], v[26:27], v[68:69], v[24:25]
	buffer_store_dword v24, off, s[60:63], 0 offset:192 ; 4-byte Folded Spill
	buffer_store_dword v25, off, s[60:63], 0 offset:196 ; 4-byte Folded Spill
	v_mul_f64 v[24:25], v[26:27], v[70:71]
	v_fma_f64 v[24:25], v[102:103], v[68:69], -v[24:25]
	buffer_store_dword v24, off, s[60:63], 0 offset:120 ; 4-byte Folded Spill
	buffer_store_dword v25, off, s[60:63], 0 offset:124 ; 4-byte Folded Spill
	v_mul_f64 v[24:25], v[96:97], v[36:37]
	v_fma_f64 v[24:25], v[20:21], v[34:35], v[24:25]
	v_mul_f64 v[20:21], v[20:21], v[36:37]
	buffer_store_dword v24, off, s[60:63], 0 offset:8 ; 4-byte Folded Spill
	buffer_store_dword v25, off, s[60:63], 0 offset:12 ; 4-byte Folded Spill
	v_fma_f64 v[20:21], v[96:97], v[34:35], -v[20:21]
	buffer_store_dword v20, off, s[60:63], 0 offset:16 ; 4-byte Folded Spill
	buffer_store_dword v21, off, s[60:63], 0 offset:20 ; 4-byte Folded Spill
	s_clause 0x3
	global_load_dwordx4 v[24:27], v92, s[12:13] offset:176
	global_load_dwordx4 v[28:31], v92, s[12:13] offset:160
	global_load_dwordx4 v[34:37], v92, s[12:13] offset:144
	global_load_dwordx4 v[68:71], v92, s[12:13] offset:128
	s_waitcnt vmcnt(0)
	v_mul_f64 v[20:21], v[98:99], v[70:71]
	v_fma_f64 v[20:21], v[22:23], v[68:69], v[20:21]
	buffer_store_dword v20, off, s[60:63], 0 offset:24 ; 4-byte Folded Spill
	buffer_store_dword v21, off, s[60:63], 0 offset:28 ; 4-byte Folded Spill
	v_mul_f64 v[20:21], v[22:23], v[70:71]
	v_fma_f64 v[20:21], v[98:99], v[68:69], -v[20:21]
	buffer_store_dword v20, off, s[60:63], 0 offset:40 ; 4-byte Folded Spill
	buffer_store_dword v21, off, s[60:63], 0 offset:44 ; 4-byte Folded Spill
	v_mul_f64 v[20:21], v[88:89], v[36:37]
	v_fma_f64 v[20:21], v[16:17], v[34:35], v[20:21]
	v_mul_f64 v[16:17], v[16:17], v[36:37]
	buffer_store_dword v20, off, s[60:63], 0 offset:200 ; 4-byte Folded Spill
	buffer_store_dword v21, off, s[60:63], 0 offset:204 ; 4-byte Folded Spill
	;; [unrolled: 38-line block ×3, first 2 shown]
	v_fma_f64 v[8:9], v[72:73], v[24:25], -v[8:9]
	buffer_store_dword v8, off, s[60:63], 0 offset:112 ; 4-byte Folded Spill
	buffer_store_dword v9, off, s[60:63], 0 offset:116 ; 4-byte Folded Spill
	v_mul_f64 v[8:9], v[74:75], v[22:23]
	v_fma_f64 v[8:9], v[10:11], v[20:21], v[8:9]
	buffer_store_dword v8, off, s[60:63], 0 offset:240 ; 4-byte Folded Spill
	buffer_store_dword v9, off, s[60:63], 0 offset:244 ; 4-byte Folded Spill
	v_mul_f64 v[8:9], v[10:11], v[22:23]
	v_fma_f64 v[8:9], v[74:75], v[20:21], -v[8:9]
	buffer_store_dword v8, off, s[60:63], 0 offset:72 ; 4-byte Folded Spill
	buffer_store_dword v9, off, s[60:63], 0 offset:76 ; 4-byte Folded Spill
	v_mul_f64 v[8:9], v[32:33], v[18:19]
	v_fma_f64 v[8:9], v[252:253], v[16:17], v[8:9]
	buffer_store_dword v8, off, s[60:63], 0 offset:256 ; 4-byte Folded Spill
	buffer_store_dword v9, off, s[60:63], 0 offset:260 ; 4-byte Folded Spill
	v_mul_f64 v[8:9], v[252:253], v[18:19]
	v_fma_f64 v[8:9], v[32:33], v[16:17], -v[8:9]
	buffer_store_dword v8, off, s[60:63], 0 offset:32 ; 4-byte Folded Spill
	buffer_store_dword v9, off, s[60:63], 0 offset:36 ; 4-byte Folded Spill
	v_add_f64 v[8:9], v[250:251], v[240:241]
	buffer_store_dword v240, off, s[60:63], 0 offset:432 ; 4-byte Folded Spill
	buffer_store_dword v241, off, s[60:63], 0 offset:436 ; 4-byte Folded Spill
	;; [unrolled: 1-line block ×4, first 2 shown]
	v_add_f64 v[8:9], v[8:9], v[62:63]
	buffer_store_dword v62, off, s[60:63], 0 offset:448 ; 4-byte Folded Spill
	buffer_store_dword v63, off, s[60:63], 0 offset:452 ; 4-byte Folded Spill
	buffer_store_dword v194, off, s[60:63], 0 offset:440 ; 4-byte Folded Spill
	buffer_store_dword v195, off, s[60:63], 0 offset:444 ; 4-byte Folded Spill
	v_add_f64 v[8:9], v[8:9], v[2:3]
	v_add_f64 v[8:9], v[8:9], v[182:183]
	;; [unrolled: 1-line block ×12, first 2 shown]
	buffer_store_dword v2, off, s[60:63], 0 offset:456 ; 4-byte Folded Spill
	buffer_store_dword v3, off, s[60:63], 0 offset:460 ; 4-byte Folded Spill
	buffer_store_dword v112, off, s[60:63], 0 offset:472 ; 4-byte Folded Spill
	buffer_store_dword v113, off, s[60:63], 0 offset:476 ; 4-byte Folded Spill
	buffer_store_dword v186, off, s[60:63], 0 offset:384 ; 4-byte Folded Spill
	buffer_store_dword v187, off, s[60:63], 0 offset:388 ; 4-byte Folded Spill
	buffer_store_dword v223, off, s[60:63], 0 offset:424 ; 4-byte Folded Spill
	buffer_store_dword v224, off, s[60:63], 0 offset:428 ; 4-byte Folded Spill
	buffer_store_dword v244, off, s[60:63], 0 offset:464 ; 4-byte Folded Spill
	buffer_store_dword v245, off, s[60:63], 0 offset:468 ; 4-byte Folded Spill
	buffer_store_dword v146, off, s[60:63], 0 offset:392 ; 4-byte Folded Spill
	buffer_store_dword v147, off, s[60:63], 0 offset:396 ; 4-byte Folded Spill
	buffer_store_dword v230, off, s[60:63], 0 offset:416 ; 4-byte Folded Spill
	buffer_store_dword v231, off, s[60:63], 0 offset:420 ; 4-byte Folded Spill
	buffer_store_dword v242, off, s[60:63], 0 offset:400 ; 4-byte Folded Spill
	buffer_store_dword v243, off, s[60:63], 0 offset:404 ; 4-byte Folded Spill
	v_add_f64 v[8:9], v[8:9], v[246:247]
	v_add_f64 v[12:13], v[8:9], v[248:249]
	;; [unrolled: 1-line block ×3, first 2 shown]
	v_mov_b32_e32 v241, v226
	v_mov_b32_e32 v240, v225
	v_add_f64 v[10:11], v[240:241], -v[174:175]
	v_mov_b32_e32 v175, v7
	v_mov_b32_e32 v174, v6
	;; [unrolled: 1-line block ×6, first 2 shown]
	v_add_f64 v[70:71], v[194:195], -v[174:175]
	v_mov_b32_e32 v163, v151
	v_mov_b32_e32 v162, v150
	v_mul_f64 v[14:15], v[10:11], s[4:5]
	v_mul_f64 v[18:19], v[10:11], s[8:9]
	v_mul_f64 v[22:23], v[10:11], s[14:15]
	v_mul_f64 v[26:27], v[10:11], s[20:21]
	v_mul_f64 v[30:31], v[10:11], s[22:23]
	v_mul_f64 v[34:35], v[10:11], s[24:25]
	v_mul_f64 v[38:39], v[10:11], s[28:29]
	v_mul_f64 v[10:11], v[10:11], s[34:35]
	v_mul_f64 v[72:73], v[70:71], s[8:9]
	v_fma_f64 v[16:17], v[8:9], s[6:7], v[14:15]
	v_fma_f64 v[14:15], v[8:9], s[6:7], -v[14:15]
	v_fma_f64 v[20:21], v[8:9], s[16:17], v[18:19]
	v_fma_f64 v[18:19], v[8:9], s[16:17], -v[18:19]
	;; [unrolled: 2-line block ×8, first 2 shown]
	v_add_f64 v[10:11], v[62:63], v[246:247]
	v_mov_b32_e32 v63, 3
	v_add_f64 v[16:17], v[250:251], v[16:17]
	v_add_f64 v[14:15], v[250:251], v[14:15]
	;; [unrolled: 1-line block ×16, first 2 shown]
	v_fma_f64 v[80:81], v[10:11], s[16:17], v[72:73]
	v_fma_f64 v[72:73], v[10:11], s[16:17], -v[72:73]
	v_add_f64 v[16:17], v[80:81], v[16:17]
	v_add_f64 v[14:15], v[72:73], v[14:15]
	v_mul_f64 v[72:73], v[70:71], s[20:21]
	v_fma_f64 v[80:81], v[10:11], s[26:27], v[72:73]
	v_fma_f64 v[72:73], v[10:11], s[26:27], -v[72:73]
	v_add_f64 v[20:21], v[80:81], v[20:21]
	v_add_f64 v[18:19], v[72:73], v[18:19]
	v_mul_f64 v[72:73], v[70:71], s[24:25]
	;; [unrolled: 5-line block ×6, first 2 shown]
	v_mul_f64 v[70:71], v[70:71], s[48:49]
	v_fma_f64 v[80:81], v[10:11], s[18:19], v[72:73]
	v_fma_f64 v[72:73], v[10:11], s[18:19], -v[72:73]
	v_add_f64 v[56:57], v[80:81], v[56:57]
	v_add_f64 v[38:39], v[72:73], v[38:39]
	v_fma_f64 v[72:73], v[10:11], s[6:7], v[70:71]
	v_fma_f64 v[10:11], v[10:11], s[6:7], -v[70:71]
	v_add_f64 v[70:71], v[223:224], -v[186:187]
	s_clause 0x3
	buffer_load_dword v194, off, s[60:63], 0 offset:500
	buffer_load_dword v195, off, s[60:63], 0 offset:504
	;; [unrolled: 1-line block ×4, first 2 shown]
	buffer_store_dword v110, off, s[60:63], 0 offset:408 ; 4-byte Folded Spill
	buffer_store_dword v111, off, s[60:63], 0 offset:412 ; 4-byte Folded Spill
	v_mov_b32_e32 v187, v167
	v_mov_b32_e32 v186, v166
	v_add_f64 v[68:69], v[72:73], v[68:69]
	v_add_f64 v[8:9], v[10:11], v[8:9]
	;; [unrolled: 1-line block ×3, first 2 shown]
	v_mul_f64 v[72:73], v[70:71], s[14:15]
	v_mov_b32_e32 v112, v192
	v_mov_b32_e32 v113, v193
	v_fma_f64 v[80:81], v[10:11], s[18:19], v[72:73]
	v_fma_f64 v[72:73], v[10:11], s[18:19], -v[72:73]
	v_add_f64 v[16:17], v[80:81], v[16:17]
	v_add_f64 v[14:15], v[72:73], v[14:15]
	v_mul_f64 v[72:73], v[70:71], s[24:25]
	v_fma_f64 v[80:81], v[10:11], s[36:37], v[72:73]
	v_fma_f64 v[72:73], v[10:11], s[36:37], -v[72:73]
	v_add_f64 v[20:21], v[80:81], v[20:21]
	v_add_f64 v[18:19], v[72:73], v[18:19]
	v_mul_f64 v[72:73], v[70:71], s[50:51]
	;; [unrolled: 5-line block ×6, first 2 shown]
	v_mul_f64 v[70:71], v[70:71], s[28:29]
	s_waitcnt vmcnt(2)
	v_add_f64 v[164:165], v[194:195], -v[166:167]
	v_fma_f64 v[80:81], v[10:11], s[26:27], v[72:73]
	v_fma_f64 v[72:73], v[10:11], s[26:27], -v[72:73]
	v_add_f64 v[56:57], v[80:81], v[56:57]
	v_add_f64 v[38:39], v[72:73], v[38:39]
	v_fma_f64 v[72:73], v[10:11], s[38:39], v[70:71]
	v_fma_f64 v[10:11], v[10:11], s[38:39], -v[70:71]
	v_add_f64 v[70:71], v[230:231], -v[146:147]
	v_mov_b32_e32 v146, v218
	v_mov_b32_e32 v147, v219
	;; [unrolled: 1-line block ×8, first 2 shown]
	v_add_f64 v[68:69], v[72:73], v[68:69]
	v_add_f64 v[8:9], v[10:11], v[8:9]
	;; [unrolled: 1-line block ×3, first 2 shown]
	v_mul_f64 v[72:73], v[70:71], s[20:21]
	v_fma_f64 v[80:81], v[10:11], s[26:27], v[72:73]
	v_fma_f64 v[72:73], v[10:11], s[26:27], -v[72:73]
	v_add_f64 v[16:17], v[80:81], v[16:17]
	v_add_f64 v[14:15], v[72:73], v[14:15]
	v_mul_f64 v[72:73], v[70:71], s[34:35]
	v_fma_f64 v[80:81], v[10:11], s[40:41], v[72:73]
	v_fma_f64 v[72:73], v[10:11], s[40:41], -v[72:73]
	v_add_f64 v[20:21], v[80:81], v[20:21]
	v_add_f64 v[18:19], v[72:73], v[18:19]
	;; [unrolled: 5-line block ×6, first 2 shown]
	v_mul_f64 v[72:73], v[70:71], s[54:55]
	v_mul_f64 v[70:71], v[70:71], s[52:53]
	v_fma_f64 v[80:81], v[10:11], s[36:37], v[72:73]
	v_fma_f64 v[72:73], v[10:11], s[36:37], -v[72:73]
	v_add_f64 v[56:57], v[80:81], v[56:57]
	v_add_f64 v[38:39], v[72:73], v[38:39]
	v_fma_f64 v[72:73], v[10:11], s[16:17], v[70:71]
	v_fma_f64 v[10:11], v[10:11], s[16:17], -v[70:71]
	v_add_f64 v[70:71], v[170:171], -v[242:243]
	v_add_f64 v[68:69], v[72:73], v[68:69]
	v_add_f64 v[8:9], v[10:11], v[8:9]
	;; [unrolled: 1-line block ×3, first 2 shown]
	v_mul_f64 v[72:73], v[70:71], s[22:23]
	v_fma_f64 v[80:81], v[10:11], s[30:31], v[72:73]
	v_fma_f64 v[72:73], v[10:11], s[30:31], -v[72:73]
	v_add_f64 v[16:17], v[80:81], v[16:17]
	v_add_f64 v[14:15], v[72:73], v[14:15]
	v_mul_f64 v[72:73], v[70:71], s[44:45]
	v_fma_f64 v[80:81], v[10:11], s[38:39], v[72:73]
	v_fma_f64 v[72:73], v[10:11], s[38:39], -v[72:73]
	v_add_f64 v[20:21], v[80:81], v[20:21]
	v_add_f64 v[18:19], v[72:73], v[18:19]
	v_mul_f64 v[72:73], v[70:71], s[52:53]
	v_fma_f64 v[80:81], v[10:11], s[16:17], v[72:73]
	v_fma_f64 v[72:73], v[10:11], s[16:17], -v[72:73]
	v_add_f64 v[24:25], v[80:81], v[24:25]
	v_add_f64 v[22:23], v[72:73], v[22:23]
	v_mul_f64 v[72:73], v[70:71], s[14:15]
	v_fma_f64 v[80:81], v[10:11], s[18:19], v[72:73]
	v_fma_f64 v[72:73], v[10:11], s[18:19], -v[72:73]
	v_add_f64 v[28:29], v[80:81], v[28:29]
	v_add_f64 v[26:27], v[72:73], v[26:27]
	v_mul_f64 v[72:73], v[70:71], s[34:35]
	v_fma_f64 v[80:81], v[10:11], s[40:41], v[72:73]
	v_fma_f64 v[72:73], v[10:11], s[40:41], -v[72:73]
	v_add_f64 v[32:33], v[80:81], v[32:33]
	v_add_f64 v[30:31], v[72:73], v[30:31]
	v_mul_f64 v[72:73], v[70:71], s[56:57]
	v_fma_f64 v[80:81], v[10:11], s[26:27], v[72:73]
	v_fma_f64 v[72:73], v[10:11], s[26:27], -v[72:73]
	v_add_f64 v[36:37], v[80:81], v[36:37]
	v_add_f64 v[34:35], v[72:73], v[34:35]
	v_mul_f64 v[72:73], v[70:71], s[4:5]
	v_mul_f64 v[70:71], v[70:71], s[24:25]
	v_fma_f64 v[80:81], v[10:11], s[6:7], v[72:73]
	v_fma_f64 v[72:73], v[10:11], s[6:7], -v[72:73]
	v_add_f64 v[56:57], v[80:81], v[56:57]
	v_add_f64 v[38:39], v[72:73], v[38:39]
	v_fma_f64 v[72:73], v[10:11], s[36:37], v[70:71]
	v_fma_f64 v[10:11], v[10:11], s[36:37], -v[70:71]
	s_waitcnt vmcnt(0)
	v_add_f64 v[70:71], v[224:225], -v[150:151]
	v_mov_b32_e32 v150, v154
	v_mov_b32_e32 v151, v155
	v_add_f64 v[68:69], v[72:73], v[68:69]
	v_add_f64 v[8:9], v[10:11], v[8:9]
	v_add_f64 v[10:11], v[146:147], v[178:179]
	v_mul_f64 v[72:73], v[70:71], s[24:25]
	v_fma_f64 v[80:81], v[10:11], s[36:37], v[72:73]
	v_fma_f64 v[72:73], v[10:11], s[36:37], -v[72:73]
	v_add_f64 v[16:17], v[80:81], v[16:17]
	v_add_f64 v[14:15], v[72:73], v[14:15]
	v_mul_f64 v[72:73], v[70:71], s[42:43]
	v_fma_f64 v[80:81], v[10:11], s[30:31], v[72:73]
	v_fma_f64 v[72:73], v[10:11], s[30:31], -v[72:73]
	v_add_f64 v[20:21], v[80:81], v[20:21]
	v_add_f64 v[18:19], v[72:73], v[18:19]
	;; [unrolled: 5-line block ×6, first 2 shown]
	v_mul_f64 v[72:73], v[70:71], s[34:35]
	v_mul_f64 v[70:71], v[70:71], s[46:47]
	v_fma_f64 v[80:81], v[10:11], s[40:41], v[72:73]
	v_fma_f64 v[72:73], v[10:11], s[40:41], -v[72:73]
	v_add_f64 v[56:57], v[80:81], v[56:57]
	v_add_f64 v[38:39], v[72:73], v[38:39]
	v_fma_f64 v[72:73], v[10:11], s[18:19], v[70:71]
	v_fma_f64 v[10:11], v[10:11], s[18:19], -v[70:71]
	v_add_f64 v[68:69], v[72:73], v[68:69]
	v_add_f64 v[8:9], v[10:11], v[8:9]
	;; [unrolled: 1-line block ×3, first 2 shown]
	v_mov_b32_e32 v110, v216
	v_mov_b32_e32 v111, v217
	v_add_f64 v[70:71], v[94:95], -v[110:111]
	v_mul_f64 v[72:73], v[70:71], s[28:29]
	v_fma_f64 v[80:81], v[10:11], s[38:39], v[72:73]
	v_fma_f64 v[72:73], v[10:11], s[38:39], -v[72:73]
	v_add_f64 v[16:17], v[80:81], v[16:17]
	v_add_f64 v[14:15], v[72:73], v[14:15]
	v_mul_f64 v[72:73], v[70:71], s[46:47]
	v_fma_f64 v[80:81], v[10:11], s[18:19], v[72:73]
	v_fma_f64 v[72:73], v[10:11], s[18:19], -v[72:73]
	v_add_f64 v[20:21], v[80:81], v[20:21]
	v_add_f64 v[18:19], v[72:73], v[18:19]
	;; [unrolled: 5-line block ×6, first 2 shown]
	v_mul_f64 v[72:73], v[70:71], s[52:53]
	v_mul_f64 v[70:71], v[70:71], s[22:23]
	v_fma_f64 v[80:81], v[10:11], s[16:17], v[72:73]
	v_fma_f64 v[72:73], v[10:11], s[16:17], -v[72:73]
	v_add_f64 v[56:57], v[80:81], v[56:57]
	v_add_f64 v[38:39], v[72:73], v[38:39]
	v_fma_f64 v[72:73], v[10:11], s[30:31], v[70:71]
	v_fma_f64 v[10:11], v[10:11], s[30:31], -v[70:71]
	v_mul_f64 v[70:71], v[164:165], s[34:35]
	v_add_f64 v[68:69], v[72:73], v[68:69]
	v_add_f64 v[8:9], v[10:11], v[8:9]
	v_add_f64 v[10:11], v[6:7], v[150:151]
	v_fma_f64 v[72:73], v[10:11], s[40:41], v[70:71]
	v_add_f64 v[84:85], v[72:73], v[16:17]
	v_fma_f64 v[16:17], v[10:11], s[40:41], -v[70:71]
	v_add_f64 v[172:173], v[16:17], v[14:15]
	v_mul_f64 v[14:15], v[164:165], s[48:49]
	v_fma_f64 v[16:17], v[10:11], s[6:7], v[14:15]
	v_fma_f64 v[14:15], v[10:11], s[6:7], -v[14:15]
	v_add_f64 v[86:87], v[16:17], v[20:21]
	v_add_f64 v[176:177], v[14:15], v[18:19]
	v_mul_f64 v[14:15], v[164:165], s[28:29]
	v_fma_f64 v[16:17], v[10:11], s[38:39], v[14:15]
	v_fma_f64 v[14:15], v[10:11], s[38:39], -v[14:15]
	v_add_f64 v[92:93], v[16:17], v[24:25]
	;; [unrolled: 5-line block ×7, first 2 shown]
	v_add_f64 v[68:69], v[10:11], v[8:9]
	v_add_f64 v[8:9], v[4:5], v[138:139]
	buffer_store_dword v138, off, s[60:63], 0 offset:368 ; 4-byte Folded Spill
	buffer_store_dword v139, off, s[60:63], 0 offset:372 ; 4-byte Folded Spill
	;; [unrolled: 1-line block ×4, first 2 shown]
	v_add_f64 v[8:9], v[8:9], v[50:51]
	buffer_store_dword v50, off, s[60:63], 0 offset:344 ; 4-byte Folded Spill
	buffer_store_dword v51, off, s[60:63], 0 offset:348 ; 4-byte Folded Spill
	v_add_f64 v[8:9], v[8:9], v[220:221]
	buffer_store_dword v220, off, s[60:63], 0 offset:288 ; 4-byte Folded Spill
	buffer_store_dword v221, off, s[60:63], 0 offset:292 ; 4-byte Folded Spill
	;; [unrolled: 1-line block ×6, first 2 shown]
	v_add_f64 v[8:9], v[8:9], v[188:189]
	v_add_f64 v[8:9], v[8:9], v[42:43]
	buffer_store_dword v42, off, s[60:63], 0 offset:304 ; 4-byte Folded Spill
	buffer_store_dword v43, off, s[60:63], 0 offset:308 ; 4-byte Folded Spill
	;; [unrolled: 1-line block ×4, first 2 shown]
	v_add_f64 v[8:9], v[8:9], v[130:131]
	v_add_f64 v[8:9], v[8:9], v[206:207]
	;; [unrolled: 1-line block ×6, first 2 shown]
	buffer_store_dword v130, off, s[60:63], 0 offset:296 ; 4-byte Folded Spill
	buffer_store_dword v131, off, s[60:63], 0 offset:300 ; 4-byte Folded Spill
	;; [unrolled: 1-line block ×12, first 2 shown]
	s_waitcnt_vscnt null, 0x0
	s_barrier
	buffer_gl0_inv
	buffer_load_dword v2, off, s[60:63], 0 offset:488 ; 4-byte Folded Reload
	v_add_f64 v[8:9], v[8:9], v[136:137]
	v_add_f64 v[8:9], v[8:9], v[148:149]
	v_add_f64 v[8:9], v[8:9], v[152:153]
	v_add_f64 v[8:9], v[8:9], v[156:157]
	v_add_f64 v[10:11], v[112:113], -v[40:41]
	v_mov_b32_e32 v40, v134
	v_mov_b32_e32 v41, v135
	v_add_f64 v[22:23], v[8:9], v[160:161]
	v_add_f64 v[8:9], v[138:139], v[160:161]
	v_mul_f64 v[14:15], v[10:11], s[4:5]
	v_mul_f64 v[18:19], v[10:11], s[8:9]
	;; [unrolled: 1-line block ×8, first 2 shown]
	v_fma_f64 v[16:17], v[8:9], s[6:7], v[14:15]
	v_fma_f64 v[14:15], v[8:9], s[6:7], -v[14:15]
	v_fma_f64 v[20:21], v[8:9], s[16:17], v[18:19]
	v_fma_f64 v[18:19], v[8:9], s[16:17], -v[18:19]
	;; [unrolled: 2-line block ×8, first 2 shown]
	v_add_f64 v[10:11], v[134:135], -v[158:159]
	v_add_f64 v[16:17], v[4:5], v[16:17]
	v_add_f64 v[14:15], v[4:5], v[14:15]
	;; [unrolled: 1-line block ×17, first 2 shown]
	v_mul_f64 v[204:205], v[10:11], s[8:9]
	v_mov_b32_e32 v50, v140
	v_mov_b32_e32 v51, v141
	v_fma_f64 v[208:209], v[8:9], s[16:17], v[204:205]
	v_fma_f64 v[204:205], v[8:9], s[16:17], -v[204:205]
	v_add_f64 v[16:17], v[208:209], v[16:17]
	v_add_f64 v[14:15], v[204:205], v[14:15]
	v_mul_f64 v[204:205], v[10:11], s[20:21]
	v_fma_f64 v[208:209], v[8:9], s[26:27], v[204:205]
	v_fma_f64 v[204:205], v[8:9], s[26:27], -v[204:205]
	v_add_f64 v[20:21], v[208:209], v[20:21]
	v_add_f64 v[18:19], v[204:205], v[18:19]
	v_mul_f64 v[204:205], v[10:11], s[24:25]
	;; [unrolled: 5-line block ×3, first 2 shown]
	v_add_f64 v[116:117], v[108:109], -v[144:145]
	v_add_f64 v[114:115], v[126:127], v[66:67]
	v_fma_f64 v[208:209], v[8:9], s[40:41], v[204:205]
	v_fma_f64 v[204:205], v[8:9], s[40:41], -v[204:205]
	v_add_f64 v[30:31], v[208:209], v[30:31]
	v_add_f64 v[28:29], v[204:205], v[28:29]
	v_mul_f64 v[204:205], v[10:11], s[44:45]
	v_fma_f64 v[208:209], v[8:9], s[38:39], v[204:205]
	v_fma_f64 v[204:205], v[8:9], s[38:39], -v[204:205]
	v_add_f64 v[34:35], v[208:209], v[34:35]
	v_add_f64 v[32:33], v[204:205], v[32:33]
	v_mul_f64 v[204:205], v[10:11], s[42:43]
	;; [unrolled: 5-line block ×3, first 2 shown]
	v_mul_f64 v[10:11], v[10:11], s[48:49]
	v_fma_f64 v[208:209], v[8:9], s[18:19], v[204:205]
	v_fma_f64 v[204:205], v[8:9], s[18:19], -v[204:205]
	v_add_f64 v[164:165], v[208:209], v[164:165]
	v_add_f64 v[56:57], v[204:205], v[56:57]
	v_fma_f64 v[204:205], v[8:9], s[6:7], v[10:11]
	v_fma_f64 v[8:9], v[8:9], s[6:7], -v[10:11]
	v_add_f64 v[10:11], v[54:55], -v[44:45]
	v_add_f64 v[168:169], v[204:205], v[168:169]
	v_add_f64 v[4:5], v[8:9], v[4:5]
	;; [unrolled: 1-line block ×3, first 2 shown]
	v_mul_f64 v[204:205], v[10:11], s[14:15]
	v_fma_f64 v[208:209], v[8:9], s[18:19], v[204:205]
	v_fma_f64 v[204:205], v[8:9], s[18:19], -v[204:205]
	v_add_f64 v[16:17], v[208:209], v[16:17]
	v_add_f64 v[14:15], v[204:205], v[14:15]
	v_mul_f64 v[204:205], v[10:11], s[24:25]
	v_fma_f64 v[208:209], v[8:9], s[36:37], v[204:205]
	v_fma_f64 v[204:205], v[8:9], s[36:37], -v[204:205]
	v_add_f64 v[20:21], v[208:209], v[20:21]
	v_add_f64 v[18:19], v[204:205], v[18:19]
	;; [unrolled: 5-line block ×6, first 2 shown]
	v_mul_f64 v[204:205], v[10:11], s[20:21]
	v_mul_f64 v[10:11], v[10:11], s[28:29]
	v_fma_f64 v[208:209], v[8:9], s[26:27], v[204:205]
	v_fma_f64 v[204:205], v[8:9], s[26:27], -v[204:205]
	v_add_f64 v[164:165], v[208:209], v[164:165]
	v_add_f64 v[56:57], v[204:205], v[56:57]
	v_fma_f64 v[204:205], v[8:9], s[38:39], v[10:11]
	v_fma_f64 v[8:9], v[8:9], s[38:39], -v[10:11]
	v_add_f64 v[10:11], v[212:213], -v[48:49]
	v_add_f64 v[168:169], v[204:205], v[168:169]
	v_add_f64 v[4:5], v[8:9], v[4:5]
	;; [unrolled: 1-line block ×3, first 2 shown]
	v_mul_f64 v[204:205], v[10:11], s[20:21]
	v_fma_f64 v[208:209], v[8:9], s[26:27], v[204:205]
	v_fma_f64 v[204:205], v[8:9], s[26:27], -v[204:205]
	v_add_f64 v[16:17], v[208:209], v[16:17]
	v_add_f64 v[14:15], v[204:205], v[14:15]
	v_mul_f64 v[204:205], v[10:11], s[34:35]
	v_fma_f64 v[208:209], v[8:9], s[40:41], v[204:205]
	v_fma_f64 v[204:205], v[8:9], s[40:41], -v[204:205]
	v_add_f64 v[20:21], v[208:209], v[20:21]
	v_add_f64 v[18:19], v[204:205], v[18:19]
	v_mul_f64 v[204:205], v[10:11], s[42:43]
	v_fma_f64 v[208:209], v[8:9], s[30:31], v[204:205]
	v_fma_f64 v[204:205], v[8:9], s[30:31], -v[204:205]
	v_add_f64 v[26:27], v[208:209], v[26:27]
	v_add_f64 v[24:25], v[204:205], v[24:25]
	v_mul_f64 v[204:205], v[10:11], s[48:49]
	v_fma_f64 v[208:209], v[8:9], s[6:7], v[204:205]
	v_fma_f64 v[204:205], v[8:9], s[6:7], -v[204:205]
	v_add_f64 v[30:31], v[208:209], v[30:31]
	v_add_f64 v[28:29], v[204:205], v[28:29]
	v_mul_f64 v[204:205], v[10:11], s[14:15]
	v_fma_f64 v[208:209], v[8:9], s[18:19], v[204:205]
	v_fma_f64 v[204:205], v[8:9], s[18:19], -v[204:205]
	v_add_f64 v[34:35], v[208:209], v[34:35]
	v_add_f64 v[32:33], v[204:205], v[32:33]
	v_mul_f64 v[204:205], v[10:11], s[28:29]
	v_fma_f64 v[208:209], v[8:9], s[38:39], v[204:205]
	v_fma_f64 v[204:205], v[8:9], s[38:39], -v[204:205]
	v_add_f64 v[38:39], v[208:209], v[38:39]
	v_add_f64 v[36:37], v[204:205], v[36:37]
	v_mul_f64 v[204:205], v[10:11], s[54:55]
	v_mul_f64 v[10:11], v[10:11], s[52:53]
	v_fma_f64 v[208:209], v[8:9], s[36:37], v[204:205]
	v_fma_f64 v[204:205], v[8:9], s[36:37], -v[204:205]
	v_add_f64 v[164:165], v[208:209], v[164:165]
	v_add_f64 v[56:57], v[204:205], v[56:57]
	v_fma_f64 v[204:205], v[8:9], s[16:17], v[10:11]
	v_fma_f64 v[8:9], v[8:9], s[16:17], -v[10:11]
	v_add_f64 v[10:11], v[46:47], -v[52:53]
	v_mov_b32_e32 v46, v144
	v_mov_b32_e32 v47, v145
	v_add_f64 v[168:169], v[204:205], v[168:169]
	v_add_f64 v[4:5], v[8:9], v[4:5]
	;; [unrolled: 1-line block ×3, first 2 shown]
	v_mul_f64 v[204:205], v[10:11], s[22:23]
	v_mov_b32_e32 v42, v60
	v_mov_b32_e32 v43, v61
	v_fma_f64 v[208:209], v[8:9], s[30:31], v[204:205]
	v_fma_f64 v[204:205], v[8:9], s[30:31], -v[204:205]
	v_add_f64 v[16:17], v[208:209], v[16:17]
	v_add_f64 v[14:15], v[204:205], v[14:15]
	v_mul_f64 v[204:205], v[10:11], s[44:45]
	v_fma_f64 v[208:209], v[8:9], s[38:39], v[204:205]
	v_fma_f64 v[204:205], v[8:9], s[38:39], -v[204:205]
	v_add_f64 v[20:21], v[208:209], v[20:21]
	v_add_f64 v[18:19], v[204:205], v[18:19]
	v_mul_f64 v[204:205], v[10:11], s[52:53]
	;; [unrolled: 5-line block ×6, first 2 shown]
	v_mul_f64 v[10:11], v[10:11], s[24:25]
	v_fma_f64 v[208:209], v[8:9], s[6:7], v[204:205]
	v_fma_f64 v[204:205], v[8:9], s[6:7], -v[204:205]
	v_add_f64 v[164:165], v[208:209], v[164:165]
	v_add_f64 v[56:57], v[204:205], v[56:57]
	v_fma_f64 v[204:205], v[8:9], s[36:37], v[10:11]
	v_fma_f64 v[8:9], v[8:9], s[36:37], -v[10:11]
	v_add_f64 v[10:11], v[60:61], -v[58:59]
	v_add_f64 v[168:169], v[204:205], v[168:169]
	v_add_f64 v[4:5], v[8:9], v[4:5]
	;; [unrolled: 1-line block ×3, first 2 shown]
	v_mul_f64 v[204:205], v[10:11], s[24:25]
	v_mov_b32_e32 v130, v199
	v_mov_b32_e32 v131, v200
	v_fma_f64 v[208:209], v[8:9], s[36:37], v[204:205]
	v_fma_f64 v[204:205], v[8:9], s[36:37], -v[204:205]
	v_add_f64 v[16:17], v[208:209], v[16:17]
	v_add_f64 v[14:15], v[204:205], v[14:15]
	v_mul_f64 v[204:205], v[10:11], s[42:43]
	v_fma_f64 v[208:209], v[8:9], s[30:31], v[204:205]
	v_fma_f64 v[204:205], v[8:9], s[30:31], -v[204:205]
	v_add_f64 v[20:21], v[208:209], v[20:21]
	v_add_f64 v[18:19], v[204:205], v[18:19]
	v_mul_f64 v[204:205], v[10:11], s[4:5]
	v_fma_f64 v[208:209], v[8:9], s[6:7], v[204:205]
	v_fma_f64 v[204:205], v[8:9], s[6:7], -v[204:205]
	v_add_f64 v[26:27], v[208:209], v[26:27]
	v_add_f64 v[24:25], v[204:205], v[24:25]
	v_mul_f64 v[204:205], v[10:11], s[28:29]
	v_fma_f64 v[208:209], v[8:9], s[38:39], v[204:205]
	v_fma_f64 v[204:205], v[8:9], s[38:39], -v[204:205]
	v_add_f64 v[30:31], v[208:209], v[30:31]
	v_add_f64 v[28:29], v[204:205], v[28:29]
	v_mul_f64 v[204:205], v[10:11], s[56:57]
	v_fma_f64 v[208:209], v[8:9], s[26:27], v[204:205]
	v_fma_f64 v[204:205], v[8:9], s[26:27], -v[204:205]
	v_add_f64 v[34:35], v[208:209], v[34:35]
	v_add_f64 v[32:33], v[204:205], v[32:33]
	v_mul_f64 v[204:205], v[10:11], s[8:9]
	v_fma_f64 v[208:209], v[8:9], s[16:17], v[204:205]
	v_fma_f64 v[204:205], v[8:9], s[16:17], -v[204:205]
	v_add_f64 v[38:39], v[208:209], v[38:39]
	v_add_f64 v[36:37], v[204:205], v[36:37]
	v_mul_f64 v[204:205], v[10:11], s[34:35]
	v_mul_f64 v[10:11], v[10:11], s[46:47]
	v_fma_f64 v[208:209], v[8:9], s[40:41], v[204:205]
	v_fma_f64 v[204:205], v[8:9], s[40:41], -v[204:205]
	v_add_f64 v[164:165], v[208:209], v[164:165]
	v_add_f64 v[56:57], v[204:205], v[56:57]
	v_fma_f64 v[204:205], v[8:9], s[18:19], v[10:11]
	v_fma_f64 v[8:9], v[8:9], s[18:19], -v[10:11]
	v_add_f64 v[10:11], v[130:131], -v[140:141]
	v_add_f64 v[168:169], v[204:205], v[168:169]
	v_add_f64 v[4:5], v[8:9], v[4:5]
	;; [unrolled: 1-line block ×3, first 2 shown]
	v_mul_f64 v[204:205], v[10:11], s[28:29]
	v_fma_f64 v[208:209], v[8:9], s[38:39], v[204:205]
	v_fma_f64 v[204:205], v[8:9], s[38:39], -v[204:205]
	v_add_f64 v[16:17], v[208:209], v[16:17]
	v_add_f64 v[14:15], v[204:205], v[14:15]
	v_mul_f64 v[204:205], v[10:11], s[46:47]
	v_fma_f64 v[208:209], v[8:9], s[18:19], v[204:205]
	v_fma_f64 v[204:205], v[8:9], s[18:19], -v[204:205]
	v_add_f64 v[20:21], v[208:209], v[20:21]
	v_add_f64 v[18:19], v[204:205], v[18:19]
	;; [unrolled: 5-line block ×4, first 2 shown]
	v_mul_f64 v[204:205], v[10:11], s[4:5]
	v_fma_f64 v[208:209], v[8:9], s[6:7], v[204:205]
	v_add_f64 v[208:209], v[208:209], v[34:35]
	v_fma_f64 v[34:35], v[8:9], s[6:7], -v[204:205]
	v_add_f64 v[32:33], v[34:35], v[32:33]
	v_mul_f64 v[34:35], v[10:11], s[34:35]
	v_fma_f64 v[204:205], v[8:9], s[40:41], v[34:35]
	v_fma_f64 v[34:35], v[8:9], s[40:41], -v[34:35]
	v_add_f64 v[204:205], v[204:205], v[38:39]
	v_add_f64 v[210:211], v[34:35], v[36:37]
	v_mul_f64 v[34:35], v[10:11], s[52:53]
	v_mul_f64 v[10:11], v[10:11], s[22:23]
	v_fma_f64 v[36:37], v[8:9], s[16:17], v[34:35]
	v_fma_f64 v[34:35], v[8:9], s[16:17], -v[34:35]
	v_add_f64 v[74:75], v[36:37], v[164:165]
	v_add_f64 v[56:57], v[34:35], v[56:57]
	v_fma_f64 v[34:35], v[8:9], s[30:31], v[10:11]
	v_fma_f64 v[8:9], v[8:9], s[30:31], -v[10:11]
	v_add_f64 v[78:79], v[34:35], v[168:169]
	v_add_f64 v[90:91], v[8:9], v[4:5]
	v_mul_f64 v[4:5], v[116:117], s[34:35]
	v_fma_f64 v[8:9], v[114:115], s[40:41], v[4:5]
	v_fma_f64 v[4:5], v[114:115], s[40:41], -v[4:5]
	v_add_f64 v[168:169], v[8:9], v[16:17]
	v_mul_f64 v[8:9], v[116:117], s[48:49]
	v_add_f64 v[4:5], v[4:5], v[14:15]
	v_fma_f64 v[10:11], v[114:115], s[6:7], v[8:9]
	v_fma_f64 v[8:9], v[114:115], s[6:7], -v[8:9]
	v_add_f64 v[38:39], v[10:11], v[20:21]
	v_mul_f64 v[10:11], v[116:117], s[28:29]
	v_add_f64 v[8:9], v[8:9], v[18:19]
	;; [unrolled: 5-line block ×3, first 2 shown]
	v_mul_f64 v[26:27], v[116:117], s[56:57]
	v_fma_f64 v[16:17], v[114:115], s[16:17], v[14:15]
	v_fma_f64 v[14:15], v[114:115], s[16:17], -v[14:15]
	v_add_f64 v[34:35], v[16:17], v[30:31]
	v_mul_f64 v[16:17], v[116:117], s[24:25]
	v_add_f64 v[14:15], v[14:15], v[28:29]
	v_fma_f64 v[18:19], v[114:115], s[36:37], v[16:17]
	v_fma_f64 v[16:17], v[114:115], s[36:37], -v[16:17]
	v_add_f64 v[36:37], v[18:19], v[208:209]
	v_mul_f64 v[18:19], v[116:117], s[46:47]
	v_add_f64 v[16:17], v[16:17], v[32:33]
	v_lshlrev_b32_sdwa v33, v63, v227 dst_sel:DWORD dst_unused:UNUSED_PAD src0_sel:DWORD src1_sel:BYTE_0
	v_fma_f64 v[20:21], v[114:115], s[18:19], v[18:19]
	v_fma_f64 v[18:19], v[114:115], s[18:19], -v[18:19]
	v_add_f64 v[28:29], v[20:21], v[204:205]
	v_mul_f64 v[20:21], v[116:117], s[22:23]
	v_add_f64 v[18:19], v[18:19], v[210:211]
	v_fma_f64 v[24:25], v[114:115], s[30:31], v[20:21]
	v_fma_f64 v[20:21], v[114:115], s[30:31], -v[20:21]
	v_add_f64 v[30:31], v[24:25], v[74:75]
	v_add_f64 v[20:21], v[20:21], v[56:57]
	buffer_load_dword v56, off, s[60:63], 0 offset:4 ; 4-byte Folded Reload
	v_fma_f64 v[24:25], v[114:115], s[26:27], v[26:27]
	v_fma_f64 v[26:27], v[114:115], s[26:27], -v[26:27]
	s_waitcnt vmcnt(1)
	v_and_b32_e32 v32, 0xffff, v2
	v_mad_u32_u24 v32, 0x3b8, v32, 0
	v_add_f64 v[24:25], v[24:25], v[78:79]
	v_add_f64 v[26:27], v[26:27], v[90:91]
	s_waitcnt vmcnt(0)
	v_add3_u32 v121, v32, v33, v56
	ds_write2_b64 v121, v[12:13], v[84:85] offset1:7
	ds_write2_b64 v121, v[86:87], v[92:93] offset0:14 offset1:21
	ds_write2_b64 v121, v[72:73], v[82:83] offset0:28 offset1:35
	;; [unrolled: 1-line block ×7, first 2 shown]
	ds_write_b64 v121, v[172:173] offset:896
	v_and_b32_e32 v12, 0xffff, v122
	v_lshlrev_b32_sdwa v13, v63, v123 dst_sel:DWORD dst_unused:UNUSED_PAD src0_sel:DWORD src1_sel:BYTE_0
	v_mad_u32_u24 v12, 0x3b8, v12, 0
	v_add3_u32 v252, v12, v13, v56
	ds_write2_b64 v252, v[22:23], v[168:169] offset1:7
	ds_write2_b64 v252, v[38:39], v[164:165] offset0:14 offset1:21
	ds_write2_b64 v252, v[34:35], v[36:37] offset0:28 offset1:35
	;; [unrolled: 1-line block ×7, first 2 shown]
	ds_write_b64 v252, v[4:5] offset:896
	s_and_saveexec_b32 s1, s0
	s_cbranch_execz .LBB0_18
; %bb.17:
	s_clause 0x3
	buffer_load_dword v4, off, s[60:63], 0 offset:32
	buffer_load_dword v5, off, s[60:63], 0 offset:36
	;; [unrolled: 1-line block ×4, first 2 shown]
	v_mov_b32_e32 v143, v127
	s_clause 0x1
	buffer_load_dword v66, off, s[60:63], 0 offset:248
	buffer_load_dword v67, off, s[60:63], 0 offset:252
	v_mov_b32_e32 v142, v126
	s_clause 0x1
	buffer_load_dword v126, off, s[60:63], 0 offset:256
	buffer_load_dword v127, off, s[60:63], 0 offset:260
	v_lshlrev_b32_sdwa v62, v63, v120 dst_sel:DWORD dst_unused:UNUSED_PAD src0_sel:DWORD src1_sel:BYTE_0
	s_waitcnt vmcnt(4)
	v_add_f64 v[8:9], v[8:9], -v[4:5]
	s_waitcnt vmcnt(0)
	v_add_f64 v[4:5], v[66:67], v[126:127]
	v_mul_f64 v[38:39], v[8:9], s[28:29]
	v_mul_f64 v[68:69], v[8:9], s[24:25]
	v_fma_f64 v[10:11], v[4:5], s[38:39], v[38:39]
	v_fma_f64 v[38:39], v[4:5], s[38:39], -v[38:39]
	v_add_f64 v[14:15], v[236:237], v[10:11]
	s_clause 0x7
	buffer_load_dword v10, off, s[60:63], 0 offset:72
	buffer_load_dword v11, off, s[60:63], 0 offset:76
	;; [unrolled: 1-line block ×8, first 2 shown]
	v_add_f64 v[38:39], v[236:237], v[38:39]
	s_waitcnt vmcnt(4)
	v_add_f64 v[12:13], v[12:13], -v[10:11]
	s_waitcnt vmcnt(0)
	v_add_f64 v[10:11], v[108:109], v[222:223]
	v_mul_f64 v[56:57], v[12:13], s[46:47]
	v_mul_f64 v[70:71], v[12:13], s[42:43]
	v_fma_f64 v[16:17], v[10:11], s[18:19], v[56:57]
	v_fma_f64 v[18:19], v[10:11], s[30:31], v[70:71]
	v_fma_f64 v[56:57], v[10:11], s[18:19], -v[56:57]
	v_add_f64 v[16:17], v[16:17], v[14:15]
	v_fma_f64 v[14:15], v[4:5], s[36:37], v[68:69]
	v_add_f64 v[38:39], v[56:57], v[38:39]
	v_fma_f64 v[56:57], v[4:5], s[36:37], -v[68:69]
	v_add_f64 v[14:15], v[236:237], v[14:15]
	v_add_f64 v[56:57], v[236:237], v[56:57]
	;; [unrolled: 1-line block ×3, first 2 shown]
	s_clause 0x7
	buffer_load_dword v14, off, s[60:63], 0 offset:56
	buffer_load_dword v15, off, s[60:63], 0 offset:60
	buffer_load_dword v20, off, s[60:63], 0 offset:112
	buffer_load_dword v21, off, s[60:63], 0 offset:116
	buffer_load_dword v124, off, s[60:63], 0 offset:152
	buffer_load_dword v125, off, s[60:63], 0 offset:156
	buffer_load_dword v220, off, s[60:63], 0 offset:232
	buffer_load_dword v221, off, s[60:63], 0 offset:236
	s_waitcnt vmcnt(4)
	v_add_f64 v[20:21], v[14:15], -v[20:21]
	s_waitcnt vmcnt(0)
	v_add_f64 v[14:15], v[124:125], v[220:221]
	v_mul_f64 v[72:73], v[20:21], s[20:21]
	v_mul_f64 v[80:81], v[20:21], s[4:5]
	v_fma_f64 v[22:23], v[14:15], s[26:27], v[72:73]
	v_add_f64 v[22:23], v[22:23], v[16:17]
	v_fma_f64 v[16:17], v[14:15], s[6:7], v[80:81]
	v_add_f64 v[24:25], v[16:17], v[18:19]
	s_clause 0x7
	buffer_load_dword v16, off, s[60:63], 0 offset:48
	buffer_load_dword v17, off, s[60:63], 0 offset:52
	buffer_load_dword v18, off, s[60:63], 0 offset:136
	buffer_load_dword v19, off, s[60:63], 0 offset:140
	buffer_load_dword v128, off, s[60:63], 0 offset:160
	buffer_load_dword v129, off, s[60:63], 0 offset:164
	buffer_load_dword v214, off, s[60:63], 0 offset:224
	buffer_load_dword v215, off, s[60:63], 0 offset:228
	s_waitcnt vmcnt(4)
	v_add_f64 v[18:19], v[16:17], -v[18:19]
	s_waitcnt vmcnt(0)
	v_add_f64 v[16:17], v[128:129], v[214:215]
	v_mul_f64 v[82:83], v[18:19], s[54:55]
	v_mul_f64 v[84:85], v[18:19], s[28:29]
	v_fma_f64 v[26:27], v[16:17], s[36:37], v[82:83]
	v_add_f64 v[26:27], v[26:27], v[22:23]
	v_fma_f64 v[22:23], v[16:17], s[38:39], v[84:85]
	v_add_f64 v[28:29], v[22:23], v[24:25]
	;; [unrolled: 19-line block ×5, first 2 shown]
	s_clause 0x8
	buffer_load_dword v34, off, s[60:63], 0 offset:16
	buffer_load_dword v35, off, s[60:63], 0 offset:20
	;; [unrolled: 1-line block ×9, first 2 shown]
	s_waitcnt vmcnt(5)
	v_add_f64 v[36:37], v[34:35], -v[36:37]
	s_waitcnt vmcnt(1)
	v_add_f64 v[34:35], v[88:89], v[102:103]
	s_waitcnt vmcnt(0)
	v_add3_u32 v76, 0, v62, v63
	v_mul_f64 v[62:63], v[8:9], s[34:35]
	v_add_nc_u32_e32 v77, 0x1000, v76
	v_mul_f64 v[180:181], v[36:37], s[22:23]
	v_mul_f64 v[184:185], v[36:37], s[46:47]
	v_fma_f64 v[90:91], v[34:35], s[30:31], v[180:181]
	v_add_f64 v[192:193], v[90:91], v[74:75]
	v_fma_f64 v[74:75], v[34:35], s[18:19], v[184:185]
	v_add_f64 v[250:251], v[74:75], v[78:79]
	v_fma_f64 v[74:75], v[4:5], s[40:41], -v[62:63]
	v_mul_f64 v[78:79], v[12:13], s[48:49]
	v_fma_f64 v[62:63], v[4:5], s[40:41], v[62:63]
	ds_write2_b64 v77, v[250:251], v[192:193] offset0:6 offset1:13
	v_add_f64 v[74:75], v[236:237], v[74:75]
	v_fma_f64 v[90:91], v[10:11], s[6:7], -v[78:79]
	v_fma_f64 v[78:79], v[10:11], s[6:7], v[78:79]
	v_add_f64 v[62:63], v[236:237], v[62:63]
	v_add_f64 v[74:75], v[90:91], v[74:75]
	;; [unrolled: 1-line block ×3, first 2 shown]
	v_mul_f64 v[78:79], v[20:21], s[28:29]
	v_fma_f64 v[90:91], v[14:15], s[38:39], -v[78:79]
	v_fma_f64 v[78:79], v[14:15], s[38:39], v[78:79]
	v_add_f64 v[74:75], v[90:91], v[74:75]
	v_add_f64 v[62:63], v[78:79], v[62:63]
	v_mul_f64 v[78:79], v[18:19], s[52:53]
	v_fma_f64 v[90:91], v[16:17], s[16:17], -v[78:79]
	v_fma_f64 v[78:79], v[16:17], s[16:17], v[78:79]
	v_add_f64 v[74:75], v[90:91], v[74:75]
	v_add_f64 v[62:63], v[78:79], v[62:63]
	v_mul_f64 v[78:79], v[24:25], s[24:25]
	v_fma_f64 v[90:91], v[22:23], s[36:37], -v[78:79]
	v_fma_f64 v[78:79], v[22:23], s[36:37], v[78:79]
	v_add_f64 v[74:75], v[90:91], v[74:75]
	v_add_f64 v[62:63], v[78:79], v[62:63]
	v_mul_f64 v[78:79], v[28:29], s[46:47]
	v_fma_f64 v[90:91], v[26:27], s[18:19], -v[78:79]
	v_fma_f64 v[78:79], v[26:27], s[18:19], v[78:79]
	v_add_f64 v[74:75], v[90:91], v[74:75]
	v_add_f64 v[62:63], v[78:79], v[62:63]
	v_mul_f64 v[78:79], v[32:33], s[22:23]
	v_fma_f64 v[90:91], v[30:31], s[30:31], -v[78:79]
	v_fma_f64 v[78:79], v[30:31], s[30:31], v[78:79]
	v_add_f64 v[74:75], v[90:91], v[74:75]
	v_add_f64 v[62:63], v[78:79], v[62:63]
	v_mul_f64 v[78:79], v[36:37], s[56:57]
	v_fma_f64 v[90:91], v[34:35], s[26:27], -v[78:79]
	v_fma_f64 v[78:79], v[34:35], s[26:27], v[78:79]
	v_add_f64 v[74:75], v[90:91], v[74:75]
	v_add_f64 v[62:63], v[78:79], v[62:63]
	ds_write2_b64 v77, v[62:63], v[74:75] offset0:20 offset1:27
	v_fma_f64 v[62:63], v[10:11], s[30:31], -v[70:71]
	v_add_f64 v[56:57], v[62:63], v[56:57]
	v_fma_f64 v[62:63], v[14:15], s[26:27], -v[72:73]
	v_mul_f64 v[72:73], v[12:13], s[34:35]
	v_add_f64 v[38:39], v[62:63], v[38:39]
	v_fma_f64 v[62:63], v[14:15], s[6:7], -v[80:81]
	v_fma_f64 v[74:75], v[10:11], s[40:41], -v[72:73]
	v_add_f64 v[56:57], v[62:63], v[56:57]
	v_fma_f64 v[62:63], v[16:17], s[36:37], -v[82:83]
	v_add_f64 v[38:39], v[62:63], v[38:39]
	;; [unrolled: 2-line block ×9, first 2 shown]
	v_fma_f64 v[62:63], v[34:35], s[30:31], -v[180:181]
	v_mul_f64 v[180:181], v[12:13], s[20:21]
	v_add_f64 v[38:39], v[62:63], v[38:39]
	v_fma_f64 v[62:63], v[34:35], s[18:19], -v[184:185]
	v_fma_f64 v[184:185], v[10:11], s[26:27], -v[180:181]
	v_add_f64 v[56:57], v[62:63], v[56:57]
	v_mul_f64 v[62:63], v[12:13], s[44:45]
	ds_write2_b64 v77, v[38:39], v[56:57] offset0:34 offset1:41
	v_mul_f64 v[38:39], v[8:9], s[22:23]
	v_fma_f64 v[68:69], v[10:11], s[38:39], -v[62:63]
	v_fma_f64 v[56:57], v[4:5], s[30:31], -v[38:39]
	v_fma_f64 v[38:39], v[4:5], s[30:31], v[38:39]
	v_add_f64 v[56:57], v[236:237], v[56:57]
	v_add_f64 v[38:39], v[236:237], v[38:39]
	;; [unrolled: 1-line block ×3, first 2 shown]
	v_mul_f64 v[68:69], v[8:9], s[20:21]
	v_fma_f64 v[70:71], v[4:5], s[26:27], -v[68:69]
	v_add_f64 v[70:71], v[236:237], v[70:71]
	v_add_f64 v[70:71], v[74:75], v[70:71]
	v_mul_f64 v[74:75], v[20:21], s[52:53]
	v_fma_f64 v[78:79], v[14:15], s[16:17], -v[74:75]
	v_add_f64 v[56:57], v[78:79], v[56:57]
	v_mul_f64 v[78:79], v[20:21], s[42:43]
	v_fma_f64 v[80:81], v[14:15], s[30:31], -v[78:79]
	;; [unrolled: 3-line block ×12, first 2 shown]
	v_add_f64 v[70:71], v[168:169], v[70:71]
	v_mul_f64 v[168:169], v[12:13], s[24:25]
	v_mul_f64 v[12:13], v[12:13], s[8:9]
	ds_write2_b64 v77, v[56:57], v[70:71] offset0:48 offset1:55
	v_mul_f64 v[56:57], v[8:9], s[14:15]
	v_fma_f64 v[172:173], v[10:11], s[36:37], -v[168:169]
	v_fma_f64 v[70:71], v[4:5], s[18:19], -v[56:57]
	v_fma_f64 v[56:57], v[4:5], s[18:19], v[56:57]
	v_add_f64 v[70:71], v[236:237], v[70:71]
	v_add_f64 v[56:57], v[236:237], v[56:57]
	v_add_f64 v[70:71], v[172:173], v[70:71]
	v_mul_f64 v[172:173], v[8:9], s[8:9]
	v_mul_f64 v[8:9], v[8:9], s[4:5]
	v_fma_f64 v[176:177], v[4:5], s[16:17], -v[172:173]
	v_add_f64 v[176:177], v[236:237], v[176:177]
	v_add_f64 v[176:177], v[184:185], v[176:177]
	v_mul_f64 v[184:185], v[20:21], s[50:51]
	v_fma_f64 v[192:193], v[14:15], s[40:41], -v[184:185]
	v_add_f64 v[70:71], v[192:193], v[70:71]
	v_mul_f64 v[192:193], v[20:21], s[24:25]
	v_fma_f64 v[204:205], v[14:15], s[36:37], -v[192:193]
	;; [unrolled: 3-line block ×12, first 2 shown]
	v_add_f64 v[96:97], v[98:99], v[96:97]
	ds_write2_b64 v77, v[70:71], v[96:97] offset0:62 offset1:69
	v_fma_f64 v[70:71], v[10:11], s[36:37], v[168:169]
	v_fma_f64 v[96:97], v[10:11], s[26:27], v[180:181]
	v_add_nc_u32_e32 v77, 0x800, v76
	v_add_f64 v[56:57], v[70:71], v[56:57]
	v_fma_f64 v[70:71], v[14:15], s[40:41], v[184:185]
	v_add_f64 v[56:57], v[70:71], v[56:57]
	v_fma_f64 v[70:71], v[16:17], s[30:31], v[204:205]
	;; [unrolled: 2-line block ×7, first 2 shown]
	v_add_f64 v[70:71], v[236:237], v[70:71]
	v_add_f64 v[70:71], v[96:97], v[70:71]
	v_fma_f64 v[96:97], v[14:15], s[36:37], v[192:193]
	v_add_f64 v[70:71], v[96:97], v[70:71]
	v_fma_f64 v[96:97], v[16:17], s[40:41], v[208:209]
	;; [unrolled: 2-line block ×6, first 2 shown]
	v_add_f64 v[70:71], v[96:97], v[70:71]
	ds_write2_b64 v77, v[70:71], v[56:57] offset0:234 offset1:241
	v_fma_f64 v[56:57], v[10:11], s[38:39], v[62:63]
	v_fma_f64 v[62:63], v[10:11], s[40:41], v[72:73]
	v_add_f64 v[38:39], v[56:57], v[38:39]
	v_fma_f64 v[56:57], v[14:15], s[16:17], v[74:75]
	v_add_f64 v[38:39], v[56:57], v[38:39]
	;; [unrolled: 2-line block ×8, first 2 shown]
	v_add_f64 v[56:57], v[62:63], v[56:57]
	v_fma_f64 v[62:63], v[14:15], s[30:31], v[78:79]
	v_add_f64 v[56:57], v[62:63], v[56:57]
	v_fma_f64 v[62:63], v[16:17], s[6:7], v[82:83]
	;; [unrolled: 2-line block ×6, first 2 shown]
	v_add_f64 v[56:57], v[62:63], v[56:57]
	ds_write2_b64 v77, v[56:57], v[38:39] offset0:248 offset1:255
	v_fma_f64 v[38:39], v[4:5], s[6:7], v[8:9]
	v_fma_f64 v[4:5], v[4:5], s[6:7], -v[8:9]
	v_fma_f64 v[56:57], v[10:11], s[16:17], v[12:13]
	v_mul_f64 v[8:9], v[20:21], s[14:15]
	v_fma_f64 v[10:11], v[10:11], s[16:17], -v[12:13]
	v_add_f64 v[38:39], v[236:237], v[38:39]
	v_add_f64 v[4:5], v[236:237], v[4:5]
	v_fma_f64 v[20:21], v[14:15], s[18:19], v[8:9]
	v_fma_f64 v[8:9], v[14:15], s[18:19], -v[8:9]
	v_add_f64 v[38:39], v[56:57], v[38:39]
	v_add_f64 v[4:5], v[10:11], v[4:5]
	v_mul_f64 v[10:11], v[18:19], s[20:21]
	v_add_f64 v[20:21], v[20:21], v[38:39]
	v_add_f64 v[4:5], v[8:9], v[4:5]
	v_fma_f64 v[12:13], v[16:17], s[26:27], v[10:11]
	v_fma_f64 v[10:11], v[16:17], s[26:27], -v[10:11]
	v_mul_f64 v[8:9], v[24:25], s[22:23]
	v_add_f64 v[12:13], v[12:13], v[20:21]
	v_add_f64 v[4:5], v[10:11], v[4:5]
	v_fma_f64 v[14:15], v[22:23], s[30:31], v[8:9]
	v_fma_f64 v[8:9], v[22:23], s[30:31], -v[8:9]
	;; [unrolled: 5-line block ×4, first 2 shown]
	v_mul_f64 v[10:11], v[36:37], s[34:35]
	v_add_f64 v[12:13], v[14:15], v[12:13]
	v_add_f64 v[4:5], v[8:9], v[4:5]
	;; [unrolled: 1-line block ×3, first 2 shown]
	v_fma_f64 v[14:15], v[34:35], s[40:41], v[10:11]
	v_fma_f64 v[10:11], v[34:35], s[40:41], -v[10:11]
	v_add_f64 v[8:9], v[8:9], v[108:109]
	v_add_f64 v[12:13], v[14:15], v[12:13]
	;; [unrolled: 1-line block ×17, first 2 shown]
	v_mov_b32_e32 v126, v142
	v_mov_b32_e32 v127, v143
	ds_write2_b64 v77, v[8:9], v[12:13] offset0:220 offset1:227
	ds_write_b64 v76, v[4:5] offset:4704
.LBB0_18:
	s_or_b32 exec_lo, exec_lo, s1
	s_clause 0x5
	buffer_load_dword v60, off, s[60:63], 0 offset:376
	buffer_load_dword v61, off, s[60:63], 0 offset:380
	;; [unrolled: 1-line block ×6, first 2 shown]
	v_add_f64 v[4:5], v[196:197], v[240:241]
	v_add_f64 v[154:155], v[146:147], -v[178:179]
	s_waitcnt vmcnt(4)
	v_add_f64 v[8:9], v[240:241], v[60:61]
	s_waitcnt vmcnt(2)
	v_add_f64 v[10:11], v[24:25], v[174:175]
	s_waitcnt vmcnt(0)
	v_add_f64 v[12:13], v[2:3], -v[248:249]
	s_clause 0x5
	buffer_load_dword v2, off, s[60:63], 0 offset:448
	buffer_load_dword v3, off, s[60:63], 0 offset:452
	;; [unrolled: 1-line block ×6, first 2 shown]
	v_add_f64 v[4:5], v[4:5], v[24:25]
	v_mul_f64 v[24:25], v[8:9], s[6:7]
	v_mul_f64 v[26:27], v[8:9], s[16:17]
	;; [unrolled: 1-line block ×16, first 2 shown]
	v_fma_f64 v[96:97], v[12:13], s[48:49], v[24:25]
	v_fma_f64 v[24:25], v[12:13], s[4:5], v[24:25]
	;; [unrolled: 1-line block ×16, first 2 shown]
	v_add_f64 v[96:97], v[196:197], v[96:97]
	v_add_f64 v[24:25], v[196:197], v[24:25]
	;; [unrolled: 1-line block ×16, first 2 shown]
	s_waitcnt vmcnt(4)
	v_add_f64 v[14:15], v[2:3], -v[246:247]
	s_clause 0xb
	buffer_load_dword v2, off, s[60:63], 0 offset:456
	buffer_load_dword v3, off, s[60:63], 0 offset:460
	;; [unrolled: 1-line block ×12, first 2 shown]
	s_waitcnt vmcnt(12)
	v_add_f64 v[16:17], v[66:67], v[54:55]
	v_add_f64 v[4:5], v[4:5], v[66:67]
	v_mov_b32_e32 v66, v162
	v_mov_b32_e32 v67, v163
	v_fma_f64 v[12:13], v[14:15], s[52:53], v[38:39]
	v_fma_f64 v[38:39], v[14:15], s[8:9], v[38:39]
	;; [unrolled: 1-line block ×5, first 2 shown]
	v_mul_f64 v[78:79], v[16:17], s[18:19]
	v_fma_f64 v[62:63], v[14:15], s[24:25], v[62:63]
	v_fma_f64 v[168:169], v[14:15], s[50:51], v[68:69]
	;; [unrolled: 1-line block ×11, first 2 shown]
	v_mul_f64 v[80:81], v[16:17], s[36:37]
	v_mul_f64 v[82:83], v[16:17], s[40:41]
	v_mul_f64 v[84:85], v[16:17], s[30:31]
	v_mul_f64 v[86:87], v[16:17], s[16:17]
	v_mul_f64 v[90:91], v[16:17], s[6:7]
	v_add_f64 v[12:13], v[12:13], v[96:97]
	v_mul_f64 v[92:93], v[16:17], s[26:27]
	v_add_f64 v[24:25], v[38:39], v[24:25]
	v_mul_f64 v[16:17], v[16:17], s[38:39]
	v_add_f64 v[98:99], v[122:123], v[98:99]
	v_add_f64 v[26:27], v[56:57], v[26:27]
	;; [unrolled: 1-line block ×14, first 2 shown]
	s_waitcnt vmcnt(8)
	v_add_f64 v[2:3], v[2:3], -v[18:19]
	s_waitcnt vmcnt(4)
	v_add_f64 v[18:19], v[64:65], v[134:135]
	v_add_f64 v[4:5], v[4:5], v[64:65]
	s_waitcnt vmcnt(2)
	v_add_f64 v[20:21], v[182:183], -v[20:21]
	s_waitcnt vmcnt(0)
	v_add_f64 v[22:23], v[170:171], v[138:139]
	v_fma_f64 v[14:15], v[2:3], s[46:47], v[78:79]
	v_fma_f64 v[78:79], v[2:3], s[14:15], v[78:79]
	v_add_f64 v[4:5], v[4:5], v[170:171]
	v_mul_f64 v[38:39], v[18:19], s[26:27]
	v_fma_f64 v[96:97], v[2:3], s[54:55], v[80:81]
	v_fma_f64 v[80:81], v[2:3], s[24:25], v[80:81]
	;; [unrolled: 1-line block ×4, first 2 shown]
	v_mul_f64 v[104:105], v[18:19], s[6:7]
	v_fma_f64 v[86:87], v[2:3], s[52:53], v[86:87]
	v_fma_f64 v[106:107], v[2:3], s[48:49], v[90:91]
	v_mul_f64 v[114:115], v[18:19], s[18:19]
	v_fma_f64 v[90:91], v[2:3], s[4:5], v[90:91]
	v_mul_f64 v[116:117], v[18:19], s[38:39]
	v_fma_f64 v[118:119], v[2:3], s[56:57], v[92:93]
	v_fma_f64 v[92:93], v[2:3], s[20:21], v[92:93]
	v_mul_f64 v[122:123], v[18:19], s[36:37]
	v_fma_f64 v[164:165], v[2:3], s[44:45], v[16:17]
	v_mul_f64 v[170:171], v[22:23], s[30:31]
	v_mul_f64 v[166:167], v[22:23], s[38:39]
	;; [unrolled: 1-line block ×3, first 2 shown]
	v_add_f64 v[10:11], v[14:15], v[12:13]
	v_mul_f64 v[12:13], v[18:19], s[40:41]
	v_mul_f64 v[14:15], v[18:19], s[30:31]
	v_add_f64 v[4:5], v[4:5], v[224:225]
	v_add_f64 v[24:25], v[78:79], v[24:25]
	v_fma_f64 v[78:79], v[2:3], s[50:51], v[82:83]
	v_fma_f64 v[82:83], v[2:3], s[22:23], v[84:85]
	;; [unrolled: 1-line block ×4, first 2 shown]
	v_mul_f64 v[16:17], v[18:19], s[16:17]
	v_add_f64 v[18:19], v[218:219], -v[228:229]
	v_fma_f64 v[168:169], v[20:21], s[56:57], v[38:39]
	v_fma_f64 v[38:39], v[20:21], s[20:21], v[38:39]
	;; [unrolled: 1-line block ×10, first 2 shown]
	v_mul_f64 v[218:219], v[22:23], s[40:41]
	v_add_f64 v[26:27], v[80:81], v[26:27]
	v_fma_f64 v[172:173], v[20:21], s[50:51], v[12:13]
	v_fma_f64 v[176:177], v[20:21], s[34:35], v[12:13]
	;; [unrolled: 1-line block ×3, first 2 shown]
	v_add_f64 v[12:13], v[224:225], v[66:67]
	v_fma_f64 v[184:185], v[20:21], s[42:43], v[14:15]
	v_mul_f64 v[14:15], v[22:23], s[16:17]
	v_add_f64 v[4:5], v[4:5], v[94:95]
	v_mul_f64 v[224:225], v[22:23], s[6:7]
	v_fma_f64 v[220:221], v[20:21], s[8:9], v[16:17]
	v_fma_f64 v[20:21], v[20:21], s[52:53], v[16:17]
	v_mul_f64 v[16:17], v[22:23], s[26:27]
	v_mul_f64 v[22:23], v[22:23], s[36:37]
	v_add_f64 v[2:3], v[2:3], v[8:9]
	v_fma_f64 v[222:223], v[18:19], s[42:43], v[170:171]
	v_fma_f64 v[170:171], v[18:19], s[22:23], v[170:171]
	;; [unrolled: 1-line block ×6, first 2 shown]
	v_add_f64 v[56:57], v[192:193], v[56:57]
	v_fma_f64 v[250:251], v[18:19], s[50:51], v[218:219]
	v_fma_f64 v[218:219], v[18:19], s[34:35], v[218:219]
	v_add_f64 v[62:63], v[82:83], v[62:63]
	v_add_f64 v[26:27], v[176:177], v[26:27]
	;; [unrolled: 1-line block ×3, first 2 shown]
	v_mul_f64 v[162:163], v[12:13], s[36:37]
	v_mul_f64 v[228:229], v[12:13], s[30:31]
	;; [unrolled: 1-line block ×3, first 2 shown]
	v_fma_f64 v[236:237], v[18:19], s[8:9], v[14:15]
	v_mul_f64 v[240:241], v[12:13], s[38:39]
	v_fma_f64 v[242:243], v[18:19], s[52:53], v[14:15]
	v_mul_f64 v[14:15], v[12:13], s[26:27]
	v_mul_f64 v[246:247], v[12:13], s[16:17]
	;; [unrolled: 1-line block ×4, first 2 shown]
	v_add_f64 v[4:5], v[4:5], v[194:195]
	v_fma_f64 v[76:77], v[18:19], s[24:25], v[22:23]
	v_add_f64 v[2:3], v[20:21], v[2:3]
	v_fma_f64 v[253:254], v[18:19], s[20:21], v[16:17]
	v_fma_f64 v[102:103], v[18:19], s[56:57], v[16:17]
	v_fma_f64 v[88:89], v[18:19], s[48:49], v[224:225]
	v_fma_f64 v[224:225], v[18:19], s[4:5], v[224:225]
	v_fma_f64 v[124:125], v[18:19], s[54:55], v[22:23]
	v_add_f64 v[18:19], v[194:195], v[186:187]
	v_add_f64 v[16:17], v[94:95], v[110:111]
	;; [unrolled: 1-line block ×4, first 2 shown]
	v_fma_f64 v[128:129], v[154:155], s[54:55], v[162:163]
	v_fma_f64 v[162:163], v[154:155], s[24:25], v[162:163]
	;; [unrolled: 1-line block ×16, first 2 shown]
	s_clause 0x1
	buffer_load_dword v12, off, s[60:63], 0 offset:408
	buffer_load_dword v13, off, s[60:63], 0 offset:412
	v_add_f64 v[4:5], v[4:5], v[186:187]
	s_clause 0x7
	buffer_load_dword v64, off, s[60:63], 0 offset:328
	buffer_load_dword v65, off, s[60:63], 0 offset:332
	;; [unrolled: 1-line block ×8, first 2 shown]
	v_add_f64 v[2:3], v[76:77], v[2:3]
	v_add_f64 v[70:71], v[106:107], v[70:71]
	;; [unrolled: 1-line block ×5, first 2 shown]
	v_mul_f64 v[84:85], v[16:17], s[16:17]
	v_add_f64 v[74:75], v[164:165], v[74:75]
	v_add_f64 v[24:25], v[38:39], v[24:25]
	;; [unrolled: 1-line block ×7, first 2 shown]
	v_mul_f64 v[96:97], v[16:17], s[38:39]
	v_mul_f64 v[80:81], v[16:17], s[18:19]
	;; [unrolled: 1-line block ×3, first 2 shown]
	v_add_f64 v[28:29], v[78:79], v[28:29]
	v_add_f64 v[4:5], v[4:5], v[110:111]
	v_mul_f64 v[110:111], v[16:17], s[36:37]
	v_mul_f64 v[78:79], v[16:17], s[6:7]
	;; [unrolled: 1-line block ×4, first 2 shown]
	v_add_f64 v[176:177], v[154:155], v[2:3]
	v_add_f64 v[70:71], v[208:209], v[70:71]
	;; [unrolled: 1-line block ×13, first 2 shown]
	v_mul_f64 v[182:183], v[18:19], s[6:7]
	v_mul_f64 v[90:91], v[18:19], s[16:17]
	;; [unrolled: 1-line block ×3, first 2 shown]
	v_add_f64 v[36:37], v[92:93], v[36:37]
	v_add_f64 v[4:5], v[4:5], v[66:67]
	s_clause 0x3
	buffer_load_dword v66, off, s[60:63], 0 offset:264
	buffer_load_dword v67, off, s[60:63], 0 offset:268
	buffer_load_dword v2, off, s[60:63], 0 offset:368
	buffer_load_dword v3, off, s[60:63], 0 offset:372
	v_add_f64 v[10:11], v[168:169], v[10:11]
	v_add_f64 v[28:29], v[184:185], v[28:29]
	v_mul_f64 v[106:107], v[18:19], s[38:39]
	v_add_f64 v[68:69], v[253:254], v[70:71]
	v_add_f64 v[34:35], v[102:103], v[34:35]
	;; [unrolled: 1-line block ×13, first 2 shown]
	v_mov_b32_e32 v139, v47
	v_mov_b32_e32 v138, v46
	v_add_f64 v[10:11], v[222:223], v[10:11]
	v_add_f64 v[28:29], v[242:243], v[28:29]
	;; [unrolled: 1-line block ×6, first 2 shown]
	v_mov_b32_e32 v135, v51
	v_mov_b32_e32 v134, v50
	v_add_f64 v[10:11], v[128:129], v[10:11]
	v_add_f64 v[28:29], v[230:231], v[28:29]
	v_add_f64 v[4:5], v[4:5], v[54:55]
	v_add_f64 v[54:55], v[4:5], v[174:175]
	v_add_f64 v[174:175], v[214:215], v[74:75]
	v_add_f64 v[162:163], v[54:55], v[60:61]
	v_mul_f64 v[60:61], v[18:19], s[30:31]
	s_waitcnt vmcnt(12)
	v_add_f64 v[146:147], v[190:191], -v[12:13]
	v_add_f64 v[12:13], v[6:7], -v[150:151]
	v_mul_f64 v[150:151], v[16:17], s[30:31]
	v_mul_f64 v[16:17], v[18:19], s[18:19]
	v_add_f64 v[6:7], v[0:1], v[112:113]
	s_waitcnt vmcnt(4)
	v_add_f64 v[14:15], v[112:113], v[140:141]
	v_mov_b32_e32 v191, v43
	v_mov_b32_e32 v190, v42
	v_mul_f64 v[18:19], v[18:19], s[26:27]
	v_fma_f64 v[50:51], v[146:147], s[8:9], v[84:85]
	v_fma_f64 v[102:103], v[146:147], s[52:53], v[84:85]
	v_add_f64 v[84:85], v[88:89], v[72:73]
	v_fma_f64 v[118:119], v[146:147], s[44:45], v[96:97]
	v_fma_f64 v[96:97], v[146:147], s[28:29], v[96:97]
	;; [unrolled: 1-line block ×13, first 2 shown]
	v_add_f64 v[88:89], v[240:241], v[30:31]
	v_fma_f64 v[86:87], v[12:13], s[4:5], v[182:183]
	v_fma_f64 v[46:47], v[12:13], s[24:25], v[22:23]
	v_mul_f64 v[54:55], v[14:15], s[16:17]
	v_add_f64 v[6:7], v[6:7], v[40:41]
	v_fma_f64 v[98:99], v[146:147], s[20:21], v[98:99]
	v_fma_f64 v[72:73], v[146:147], s[22:23], v[150:151]
	;; [unrolled: 1-line block ×3, first 2 shown]
	v_add_f64 v[100:101], v[108:109], v[84:85]
	s_waitcnt vmcnt(0)
	v_add_f64 v[2:3], v[2:3], -v[160:161]
	v_add_f64 v[172:173], v[96:97], v[20:21]
	v_add_f64 v[168:169], v[164:165], v[24:25]
	;; [unrolled: 1-line block ×9, first 2 shown]
	v_fma_f64 v[34:35], v[12:13], s[8:9], v[90:91]
	v_mul_f64 v[62:63], v[14:15], s[18:19]
	v_fma_f64 v[32:33], v[12:13], s[54:55], v[22:23]
	v_add_f64 v[22:23], v[70:71], v[174:175]
	v_add_f64 v[108:109], v[248:249], v[36:37]
	;; [unrolled: 1-line block ×3, first 2 shown]
	v_fma_f64 v[92:93], v[12:13], s[48:49], v[182:183]
	v_add_f64 v[6:7], v[6:7], v[64:65]
	v_add_f64 v[68:69], v[98:99], v[28:29]
	v_fma_f64 v[164:165], v[12:13], s[44:45], v[106:107]
	v_fma_f64 v[166:167], v[12:13], s[28:29], v[106:107]
	v_add_f64 v[8:9], v[50:51], v[100:101]
	v_fma_f64 v[50:51], v[12:13], s[14:15], v[16:17]
	v_add_f64 v[154:155], v[82:83], v[172:173]
	v_add_f64 v[86:87], v[86:87], v[168:169]
	;; [unrolled: 1-line block ×4, first 2 shown]
	v_fma_f64 v[36:37], v[12:13], s[52:53], v[90:91]
	v_fma_f64 v[16:17], v[12:13], s[46:47], v[16:17]
	v_add_f64 v[168:169], v[46:47], v[24:25]
	v_mul_f64 v[24:25], v[14:15], s[36:37]
	v_fma_f64 v[42:43], v[12:13], s[22:23], v[60:61]
	v_add_f64 v[174:175], v[34:35], v[30:31]
	v_fma_f64 v[34:35], v[2:3], s[8:9], v[54:55]
	v_fma_f64 v[46:47], v[2:3], s[46:47], v[62:63]
	v_add_f64 v[176:177], v[32:33], v[26:27]
	v_add_f64 v[10:11], v[102:103], v[108:109]
	;; [unrolled: 1-line block ×8, first 2 shown]
	v_mul_f64 v[56:57], v[14:15], s[26:27]
	v_add_f64 v[172:173], v[50:51], v[20:21]
	v_fma_f64 v[20:21], v[2:3], s[52:53], v[54:55]
	v_fma_f64 v[54:55], v[2:3], s[14:15], v[62:63]
	s_clause 0x3
	buffer_load_dword v62, off, s[60:63], 0 offset:344
	buffer_load_dword v63, off, s[60:63], 0 offset:348
	;; [unrolled: 1-line block ×4, first 2 shown]
	v_add_f64 v[166:167], v[36:37], v[28:29]
	v_mul_f64 v[28:29], v[14:15], s[30:31]
	v_fma_f64 v[36:37], v[12:13], s[42:43], v[60:61]
	v_fma_f64 v[50:51], v[12:13], s[20:21], v[18:19]
	;; [unrolled: 1-line block ×5, first 2 shown]
	v_add_f64 v[34:35], v[0:1], v[34:35]
	v_add_f64 v[46:47], v[0:1], v[46:47]
	;; [unrolled: 1-line block ×3, first 2 shown]
	v_mul_f64 v[68:69], v[26:27], s[16:17]
	v_mul_f64 v[74:75], v[26:27], s[26:27]
	v_add_f64 v[6:7], v[6:7], v[194:195]
	v_mul_f64 v[76:77], v[26:27], s[36:37]
	v_mul_f64 v[80:81], v[26:27], s[40:41]
	;; [unrolled: 1-line block ×3, first 2 shown]
	v_fma_f64 v[60:61], v[2:3], s[56:57], v[56:57]
	v_mul_f64 v[96:97], v[26:27], s[18:19]
	v_add_f64 v[20:21], v[0:1], v[20:21]
	v_add_f64 v[54:55], v[0:1], v[54:55]
	;; [unrolled: 1-line block ×18, first 2 shown]
	v_mul_f64 v[6:7], v[14:15], s[6:7]
	v_add_f64 v[48:49], v[144:145], v[48:49]
	v_add_f64 v[30:31], v[38:39], v[44:45]
	v_fma_f64 v[32:33], v[2:3], s[48:49], v[6:7]
	v_fma_f64 v[6:7], v[2:3], s[4:5], v[6:7]
	v_mul_f64 v[38:39], v[14:15], s[38:39]
	v_mul_f64 v[14:15], v[14:15], s[40:41]
	v_add_f64 v[44:45], v[64:65], v[44:45]
	v_mul_f64 v[64:65], v[58:59], s[38:39]
	v_add_f64 v[18:19], v[30:31], v[158:159]
	v_fma_f64 v[30:31], v[2:3], s[20:21], v[56:57]
	v_add_f64 v[32:33], v[0:1], v[32:33]
	v_fma_f64 v[56:57], v[2:3], s[42:43], v[28:29]
	v_fma_f64 v[28:29], v[2:3], s[22:23], v[28:29]
	v_add_f64 v[6:7], v[0:1], v[6:7]
	v_fma_f64 v[78:79], v[2:3], s[44:45], v[38:39]
	v_fma_f64 v[38:39], v[2:3], s[28:29], v[38:39]
	;; [unrolled: 1-line block ×4, first 2 shown]
	v_mul_f64 v[14:15], v[26:27], s[38:39]
	v_mul_f64 v[26:27], v[26:27], s[6:7]
	;; [unrolled: 1-line block ×3, first 2 shown]
	v_add_f64 v[30:31], v[0:1], v[30:31]
	v_add_f64 v[56:57], v[0:1], v[56:57]
	;; [unrolled: 1-line block ×7, first 2 shown]
	s_waitcnt vmcnt(2)
	v_add_f64 v[62:63], v[62:63], -v[156:157]
	s_waitcnt vmcnt(0)
	v_add_f64 v[102:103], v[102:103], -v[152:153]
	v_fma_f64 v[88:89], v[62:63], s[52:53], v[68:69]
	v_fma_f64 v[94:95], v[62:63], s[56:57], v[74:75]
	;; [unrolled: 1-line block ×10, first 2 shown]
	v_add_f64 v[32:33], v[88:89], v[32:33]
	v_fma_f64 v[88:89], v[62:63], s[22:23], v[90:91]
	v_fma_f64 v[90:91], v[62:63], s[42:43], v[90:91]
	v_add_f64 v[20:21], v[94:95], v[20:21]
	v_mul_f64 v[94:95], v[44:45], s[40:41]
	v_add_f64 v[6:7], v[68:69], v[6:7]
	v_mul_f64 v[68:69], v[44:45], s[36:37]
	v_add_f64 v[34:35], v[74:75], v[34:35]
	v_fma_f64 v[74:75], v[62:63], s[14:15], v[96:97]
	v_add_f64 v[46:47], v[98:99], v[46:47]
	v_fma_f64 v[96:97], v[62:63], s[46:47], v[96:97]
	v_mul_f64 v[98:99], v[44:45], s[30:31]
	v_add_f64 v[54:55], v[76:77], v[54:55]
	v_fma_f64 v[76:77], v[62:63], s[4:5], v[26:27]
	v_fma_f64 v[26:27], v[62:63], s[48:49], v[26:27]
	v_add_f64 v[30:31], v[80:81], v[30:31]
	v_mul_f64 v[62:63], v[44:45], s[16:17]
	v_mul_f64 v[80:81], v[44:45], s[6:7]
	v_add_f64 v[60:61], v[100:101], v[60:61]
	v_add_f64 v[2:3], v[2:3], v[56:57]
	v_fma_f64 v[56:57], v[102:103], s[46:47], v[104:105]
	v_add_f64 v[14:15], v[14:15], v[28:29]
	v_fma_f64 v[28:29], v[102:103], s[14:15], v[104:105]
	v_add_f64 v[72:73], v[88:89], v[72:73]
	v_add_f64 v[24:25], v[90:91], v[24:25]
	v_mul_f64 v[88:89], v[44:45], s[26:27]
	v_fma_f64 v[90:91], v[102:103], s[50:51], v[94:95]
	v_mul_f64 v[44:45], v[44:45], s[38:39]
	v_fma_f64 v[100:101], v[102:103], s[54:55], v[68:69]
	v_fma_f64 v[68:69], v[102:103], s[24:25], v[68:69]
	v_add_f64 v[74:75], v[74:75], v[78:79]
	v_fma_f64 v[78:79], v[102:103], s[34:35], v[94:95]
	v_add_f64 v[38:39], v[96:97], v[38:39]
	v_fma_f64 v[94:95], v[102:103], s[22:23], v[98:99]
	v_fma_f64 v[96:97], v[102:103], s[42:43], v[98:99]
	v_add_f64 v[76:77], v[76:77], v[82:83]
	v_add_f64 v[0:1], v[26:27], v[0:1]
	v_add_f64 v[26:27], v[188:189], -v[148:149]
	v_mul_f64 v[82:83], v[48:49], s[26:27]
	v_fma_f64 v[98:99], v[102:103], s[8:9], v[62:63]
	v_fma_f64 v[62:63], v[102:103], s[52:53], v[62:63]
	v_add_f64 v[32:33], v[56:57], v[32:33]
	v_mul_f64 v[56:57], v[48:49], s[40:41]
	v_add_f64 v[6:7], v[28:29], v[6:7]
	v_fma_f64 v[28:29], v[102:103], s[48:49], v[80:81]
	v_fma_f64 v[80:81], v[102:103], s[4:5], v[80:81]
	v_add_f64 v[54:55], v[90:91], v[54:55]
	v_fma_f64 v[90:91], v[102:103], s[44:45], v[44:45]
	v_fma_f64 v[44:45], v[102:103], s[28:29], v[44:45]
	v_add_f64 v[34:35], v[68:69], v[34:35]
	v_fma_f64 v[68:69], v[102:103], s[56:57], v[88:89]
	v_fma_f64 v[88:89], v[102:103], s[20:21], v[88:89]
	v_add_f64 v[46:47], v[78:79], v[46:47]
	v_mul_f64 v[78:79], v[48:49], s[6:7]
	v_add_f64 v[60:61], v[94:95], v[60:61]
	v_add_f64 v[30:31], v[96:97], v[30:31]
	v_mul_f64 v[94:95], v[48:49], s[18:19]
	v_add_f64 v[20:21], v[100:101], v[20:21]
	v_fma_f64 v[96:97], v[26:27], s[56:57], v[82:83]
	v_mul_f64 v[100:101], v[48:49], s[30:31]
	v_add_f64 v[14:15], v[62:63], v[14:15]
	v_add_f64 v[2:3], v[98:99], v[2:3]
	v_fma_f64 v[62:63], v[26:27], s[20:21], v[82:83]
	v_fma_f64 v[82:83], v[26:27], s[50:51], v[56:57]
	v_mul_f64 v[98:99], v[48:49], s[38:39]
	v_fma_f64 v[56:57], v[26:27], s[34:35], v[56:57]
	v_add_f64 v[28:29], v[28:29], v[72:73]
	v_add_f64 v[24:25], v[80:81], v[24:25]
	v_mul_f64 v[80:81], v[48:49], s[36:37]
	v_add_f64 v[76:77], v[90:91], v[76:77]
	s_clause 0x1
	buffer_load_dword v90, off, s[60:63], 0 offset:304
	buffer_load_dword v91, off, s[60:63], 0 offset:308
	v_add_f64 v[0:1], v[44:45], v[0:1]
	v_add_f64 v[68:69], v[68:69], v[74:75]
	;; [unrolled: 1-line block ×3, first 2 shown]
	v_mul_f64 v[48:49], v[48:49], s[16:17]
	v_fma_f64 v[88:89], v[26:27], s[4:5], v[78:79]
	v_fma_f64 v[78:79], v[26:27], s[48:49], v[78:79]
	v_fma_f64 v[44:45], v[26:27], s[46:47], v[94:95]
	v_fma_f64 v[94:95], v[26:27], s[14:15], v[94:95]
	v_add_f64 v[32:33], v[96:97], v[32:33]
	v_mul_f64 v[96:97], v[52:53], s[38:39]
	v_fma_f64 v[72:73], v[26:27], s[22:23], v[100:101]
	v_fma_f64 v[74:75], v[26:27], s[42:43], v[100:101]
	v_add_f64 v[6:7], v[62:63], v[6:7]
	v_add_f64 v[20:21], v[82:83], v[20:21]
	v_fma_f64 v[62:63], v[26:27], s[44:45], v[98:99]
	v_fma_f64 v[82:83], v[26:27], s[28:29], v[98:99]
	v_add_f64 v[34:35], v[56:57], v[34:35]
	v_mul_f64 v[56:57], v[52:53], s[16:17]
	v_mul_f64 v[100:101], v[52:53], s[30:31]
	;; [unrolled: 1-line block ×3, first 2 shown]
	v_fma_f64 v[102:103], v[26:27], s[8:9], v[48:49]
	v_add_f64 v[60:61], v[88:89], v[60:61]
	v_add_f64 v[30:31], v[78:79], v[30:31]
	v_mul_f64 v[88:89], v[52:53], s[26:27]
	v_add_f64 v[2:3], v[44:45], v[2:3]
	v_add_f64 v[14:15], v[94:95], v[14:15]
	v_add_f64 v[46:47], v[72:73], v[46:47]
	v_fma_f64 v[72:73], v[26:27], s[24:25], v[80:81]
	v_fma_f64 v[80:81], v[26:27], s[54:55], v[80:81]
	v_add_f64 v[54:55], v[74:75], v[54:55]
	v_add_f64 v[28:29], v[62:63], v[28:29]
	;; [unrolled: 1-line block ×3, first 2 shown]
	v_mul_f64 v[62:63], v[52:53], s[6:7]
	v_fma_f64 v[26:27], v[26:27], s[52:53], v[48:49]
	v_mul_f64 v[74:75], v[52:53], s[40:41]
	v_mul_f64 v[52:53], v[52:53], s[36:37]
	v_add_f64 v[76:77], v[102:103], v[76:77]
	v_add_f64 v[68:69], v[72:73], v[68:69]
	;; [unrolled: 1-line block ×4, first 2 shown]
	s_waitcnt vmcnt(0)
	v_add_f64 v[90:91], v[90:91], -v[136:137]
	v_fma_f64 v[78:79], v[90:91], s[28:29], v[96:97]
	v_fma_f64 v[94:95], v[90:91], s[44:45], v[96:97]
	s_clause 0x3
	buffer_load_dword v96, off, s[60:63], 0 offset:296
	buffer_load_dword v97, off, s[60:63], 0 offset:300
	;; [unrolled: 1-line block ×4, first 2 shown]
	v_fma_f64 v[82:83], v[90:91], s[8:9], v[56:57]
	v_fma_f64 v[56:57], v[90:91], s[52:53], v[56:57]
	;; [unrolled: 1-line block ×6, first 2 shown]
	v_mul_f64 v[98:99], v[58:59], s[36:37]
	v_add_f64 v[20:21], v[78:79], v[20:21]
	v_add_f64 v[34:35], v[94:95], v[34:35]
	v_mul_f64 v[78:79], v[58:59], s[6:7]
	v_fma_f64 v[94:95], v[90:91], s[48:49], v[62:63]
	v_add_f64 v[54:55], v[56:57], v[54:55]
	v_fma_f64 v[56:57], v[90:91], s[4:5], v[62:63]
	v_add_f64 v[26:27], v[48:49], v[32:33]
	v_fma_f64 v[32:33], v[90:91], s[50:51], v[74:75]
	v_mul_f64 v[48:49], v[58:59], s[30:31]
	v_add_f64 v[6:7], v[44:45], v[6:7]
	v_fma_f64 v[44:45], v[90:91], s[34:35], v[74:75]
	v_fma_f64 v[74:75], v[90:91], s[20:21], v[88:89]
	;; [unrolled: 1-line block ×3, first 2 shown]
	v_add_f64 v[46:47], v[82:83], v[46:47]
	v_add_f64 v[60:61], v[72:73], v[60:61]
	;; [unrolled: 1-line block ×3, first 2 shown]
	v_fma_f64 v[72:73], v[90:91], s[54:55], v[52:53]
	v_fma_f64 v[52:53], v[90:91], s[24:25], v[52:53]
	v_mul_f64 v[82:83], v[58:59], s[26:27]
	v_add_f64 v[30:31], v[80:81], v[30:31]
	v_add_f64 v[68:69], v[94:95], v[68:69]
	;; [unrolled: 1-line block ×7, first 2 shown]
	v_mul_f64 v[88:89], v[62:63], s[38:39]
	v_add_f64 v[72:73], v[72:73], v[76:77]
	v_add_f64 v[0:1], v[52:53], v[0:1]
	s_waitcnt vmcnt(0)
	v_add_f64 v[96:97], v[96:97], -v[40:41]
	s_clause 0x3
	buffer_load_dword v56, off, s[60:63], 0 offset:272
	buffer_load_dword v57, off, s[60:63], 0 offset:276
	;; [unrolled: 1-line block ×4, first 2 shown]
	v_fma_f64 v[80:81], v[96:97], s[54:55], v[98:99]
	v_fma_f64 v[90:91], v[96:97], s[24:25], v[98:99]
	;; [unrolled: 1-line block ×3, first 2 shown]
	v_mul_f64 v[98:99], v[58:59], s[16:17]
	v_fma_f64 v[44:45], v[96:97], s[42:43], v[48:49]
	v_mul_f64 v[48:49], v[58:59], s[40:41]
	v_fma_f64 v[74:75], v[96:97], s[48:49], v[78:79]
	;; [unrolled: 2-line block ×3, first 2 shown]
	v_fma_f64 v[94:95], v[96:97], s[44:45], v[64:65]
	v_fma_f64 v[52:53], v[96:97], s[28:29], v[64:65]
	;; [unrolled: 1-line block ×4, first 2 shown]
	v_add_f64 v[26:27], v[80:81], v[26:27]
	v_add_f64 v[6:7], v[90:91], v[6:7]
	v_add_f64 v[20:21], v[32:33], v[20:21]
	v_fma_f64 v[32:33], v[96:97], s[52:53], v[98:99]
	v_fma_f64 v[80:81], v[96:97], s[8:9], v[98:99]
	v_add_f64 v[34:35], v[44:45], v[34:35]
	v_mul_f64 v[44:45], v[62:63], s[18:19]
	v_fma_f64 v[82:83], v[96:97], s[50:51], v[48:49]
	v_add_f64 v[46:47], v[74:75], v[46:47]
	v_fma_f64 v[48:49], v[96:97], s[34:35], v[48:49]
	v_mul_f64 v[74:75], v[62:63], s[26:27]
	v_fma_f64 v[90:91], v[96:97], s[14:15], v[58:59]
	v_add_f64 v[54:55], v[78:79], v[54:55]
	v_fma_f64 v[58:59], v[96:97], s[46:47], v[58:59]
	v_mul_f64 v[78:79], v[62:63], s[36:37]
	v_add_f64 v[60:61], v[94:95], v[60:61]
	v_mul_f64 v[94:95], v[62:63], s[6:7]
	v_add_f64 v[30:31], v[52:53], v[30:31]
	;; [unrolled: 2-line block ×3, first 2 shown]
	v_mul_f64 v[64:65], v[62:63], s[16:17]
	v_mul_f64 v[62:63], v[62:63], s[30:31]
	v_add_f64 v[14:15], v[76:77], v[14:15]
	v_add_f64 v[28:29], v[32:33], v[28:29]
	;; [unrolled: 1-line block ×8, first 2 shown]
	v_mul_f64 v[66:67], v[32:33], s[40:41]
	s_waitcnt vmcnt(0)
	v_add_f64 v[56:57], v[56:57], -v[40:41]
	v_fma_f64 v[96:97], v[56:57], s[44:45], v[88:89]
	v_fma_f64 v[88:89], v[56:57], s[28:29], v[88:89]
	;; [unrolled: 1-line block ×13, first 2 shown]
	v_add_f64 v[26:27], v[96:97], v[26:27]
	v_add_f64 v[6:7], v[88:89], v[6:7]
	v_fma_f64 v[88:89], v[56:57], s[50:51], v[52:53]
	v_fma_f64 v[52:53], v[56:57], s[34:35], v[52:53]
	;; [unrolled: 1-line block ×3, first 2 shown]
	s_clause 0x1
	buffer_load_dword v62, off, s[60:63], 0 offset:312
	buffer_load_dword v63, off, s[60:63], 0 offset:316
	v_add_f64 v[20:21], v[76:77], v[20:21]
	v_mul_f64 v[76:77], v[32:33], s[6:7]
	v_add_f64 v[34:35], v[44:45], v[34:35]
	v_mul_f64 v[44:45], v[32:33], s[38:39]
	;; [unrolled: 2-line block ×6, first 2 shown]
	v_mul_f64 v[32:33], v[32:33], s[26:27]
	s_waitcnt vmcnt(0) lgkmcnt(0)
	s_barrier
	buffer_gl0_inv
	v_add_f64 v[2:3], v[80:81], v[2:3]
	v_add_f64 v[14:15], v[82:83], v[14:15]
	;; [unrolled: 1-line block ×10, first 2 shown]
	v_add_f64 v[62:63], v[126:127], -v[62:63]
	v_fma_f64 v[100:101], v[62:63], s[20:21], v[32:33]
	v_fma_f64 v[32:33], v[62:63], s[56:57], v[32:33]
	;; [unrolled: 1-line block ×16, first 2 shown]
	v_add_f64 v[150:151], v[100:101], v[64:65]
	v_add_f64 v[152:153], v[32:33], v[0:1]
	buffer_load_dword v0, off, s[60:63], 0  ; 4-byte Folded Reload
	v_add_f64 v[146:147], v[60:61], v[24:25]
	v_add_nc_u32_e32 v60, 0x800, v239
	v_add_f64 v[70:71], v[68:69], v[20:21]
	v_add_nc_u32_e32 v20, 0x400, v239
	v_add_nc_u32_e32 v61, 0x1000, v239
	v_add_f64 v[82:83], v[56:57], v[26:27]
	v_add_f64 v[136:137], v[66:67], v[6:7]
	;; [unrolled: 1-line block ×12, first 2 shown]
	s_waitcnt vmcnt(0)
	ds_read_b64 v[134:135], v0
	ds_read2_b64 v[4:7], v239 offset0:119 offset1:136
	ds_read2_b64 v[8:11], v239 offset0:221 offset1:238
	;; [unrolled: 1-line block ×17, first 2 shown]
	s_waitcnt lgkmcnt(0)
	s_barrier
	buffer_gl0_inv
	ds_write2_b64 v121, v[162:163], v[84:85] offset1:7
	ds_write2_b64 v121, v[86:87], v[92:93] offset0:14 offset1:21
	ds_write2_b64 v121, v[174:175], v[176:177] offset0:28 offset1:35
	;; [unrolled: 1-line block ×7, first 2 shown]
	ds_write_b64 v121, v[154:155] offset:896
	ds_write2_b64 v252, v[72:73], v[82:83] offset1:7
	ds_write2_b64 v252, v[70:71], v[80:81] offset0:14 offset1:21
	ds_write2_b64 v252, v[158:159], v[170:171] offset0:28 offset1:35
	ds_write2_b64 v252, v[68:69], v[156:157] offset0:42 offset1:49
	ds_write2_b64 v252, v[150:151], v[152:153] offset0:56 offset1:63
	ds_write2_b64 v252, v[148:149], v[146:147] offset0:70 offset1:77
	ds_write2_b64 v252, v[144:145], v[142:143] offset0:84 offset1:91
	ds_write2_b64 v252, v[140:141], v[138:139] offset0:98 offset1:105
	ds_write_b64 v252, v[136:137] offset:896
	s_and_saveexec_b32 s33, s0
	s_cbranch_execz .LBB0_20
; %bb.19:
	s_clause 0x7
	buffer_load_dword v68, off, s[60:63], 0 offset:248
	buffer_load_dword v69, off, s[60:63], 0 offset:252
	;; [unrolled: 1-line block ×8, first 2 shown]
	s_mov_b32 s18, 0x370991
	s_mov_b32 s24, 0x75d4884
	;; [unrolled: 1-line block ×48, first 2 shown]
	s_waitcnt vmcnt(4)
	v_add_f64 v[70:71], v[68:69], -v[70:71]
	s_clause 0x3
	buffer_load_dword v68, off, s[60:63], 0 offset:144
	buffer_load_dword v69, off, s[60:63], 0 offset:148
	;; [unrolled: 1-line block ×4, first 2 shown]
	s_waitcnt vmcnt(4)
	v_add_f64 v[72:73], v[116:117], v[170:171]
	v_mul_f64 v[74:75], v[72:73], s[18:19]
	v_mul_f64 v[78:79], v[72:73], s[24:25]
	;; [unrolled: 1-line block ×6, first 2 shown]
	v_fma_f64 v[98:99], v[70:71], s[0:1], v[74:75]
	v_fma_f64 v[74:75], v[70:71], s[4:5], v[74:75]
	;; [unrolled: 1-line block ×12, first 2 shown]
	s_waitcnt vmcnt(0)
	v_add_f64 v[76:77], v[68:69], -v[76:77]
	s_clause 0x3
	buffer_load_dword v68, off, s[60:63], 0 offset:152
	buffer_load_dword v69, off, s[60:63], 0 offset:156
	buffer_load_dword v80, off, s[60:63], 0 offset:232
	buffer_load_dword v81, off, s[60:63], 0 offset:236
	s_waitcnt vmcnt(0)
	v_add_f64 v[80:81], v[68:69], -v[80:81]
	s_clause 0x3
	buffer_load_dword v68, off, s[60:63], 0 offset:160
	buffer_load_dword v69, off, s[60:63], 0 offset:164
	buffer_load_dword v84, off, s[60:63], 0 offset:224
	buffer_load_dword v85, off, s[60:63], 0 offset:228
	;; [unrolled: 7-line block ×5, first 2 shown]
	buffer_load_dword v112, off, s[60:63], 0 offset:480
	buffer_load_dword v113, off, s[60:63], 0 offset:484
	s_waitcnt vmcnt(2)
	v_add_f64 v[68:69], v[68:69], -v[96:97]
	v_mul_f64 v[96:97], v[72:73], s[52:53]
	v_mul_f64 v[72:73], v[72:73], s[54:55]
	s_waitcnt vmcnt(0)
	v_add_f64 v[74:75], v[112:113], v[74:75]
	v_add_f64 v[98:99], v[112:113], v[98:99]
	;; [unrolled: 1-line block ×12, first 2 shown]
	v_fma_f64 v[110:111], v[70:71], s[42:43], v[96:97]
	v_fma_f64 v[96:97], v[70:71], s[44:45], v[96:97]
	;; [unrolled: 1-line block ×4, first 2 shown]
	v_add_f64 v[72:73], v[112:113], v[116:117]
	s_clause 0xb
	buffer_load_dword v116, off, s[60:63], 0 offset:96
	buffer_load_dword v117, off, s[60:63], 0 offset:100
	;; [unrolled: 1-line block ×12, first 2 shown]
	v_add_f64 v[110:111], v[112:113], v[110:111]
	v_add_f64 v[96:97], v[112:113], v[96:97]
	v_add_f64 v[114:115], v[112:113], v[114:115]
	v_add_f64 v[70:71], v[112:113], v[70:71]
	s_waitcnt vmcnt(10)
	v_add_f64 v[72:73], v[72:73], v[116:117]
	s_waitcnt vmcnt(8)
	v_add_f64 v[116:117], v[116:117], v[178:179]
	;; [unrolled: 2-line block ×3, first 2 shown]
	v_mul_f64 v[118:119], v[116:117], s[24:25]
	v_mul_f64 v[121:122], v[116:117], s[34:35]
	;; [unrolled: 1-line block ×8, first 2 shown]
	s_waitcnt vmcnt(4)
	v_add_f64 v[72:73], v[72:73], v[174:175]
	v_fma_f64 v[136:137], v[76:77], s[6:7], v[118:119]
	v_fma_f64 v[118:119], v[76:77], s[8:9], v[118:119]
	;; [unrolled: 1-line block ×16, first 2 shown]
	s_clause 0x7
	buffer_load_dword v116, off, s[60:63], 0 offset:120
	buffer_load_dword v117, off, s[60:63], 0 offset:124
	;; [unrolled: 1-line block ×8, first 2 shown]
	s_waitcnt vmcnt(10)
	v_add_f64 v[72:73], v[72:73], v[176:177]
	v_add_f64 v[98:99], v[136:137], v[98:99]
	;; [unrolled: 1-line block ×3, first 2 shown]
	s_clause 0x3
	buffer_load_dword v118, off, s[60:63], 0 offset:128
	buffer_load_dword v119, off, s[60:63], 0 offset:132
	;; [unrolled: 1-line block ×4, first 2 shown]
	v_add_f64 v[100:101], v[138:139], v[100:101]
	v_add_f64 v[78:79], v[121:122], v[78:79]
	;; [unrolled: 1-line block ×14, first 2 shown]
	s_waitcnt vmcnt(12)
	v_add_f64 v[72:73], v[72:73], v[154:155]
	s_waitcnt vmcnt(10)
	v_add_f64 v[72:73], v[72:73], v[116:117]
	;; [unrolled: 2-line block ×4, first 2 shown]
	v_add_f64 v[72:73], v[72:73], v[168:169]
	v_add_f64 v[72:73], v[72:73], v[172:173]
	;; [unrolled: 1-line block ×4, first 2 shown]
	s_waitcnt vmcnt(0)
	v_add_f64 v[118:119], v[152:153], v[180:181]
	v_mul_f64 v[121:122], v[118:119], s[28:29]
	v_mul_f64 v[123:124], v[118:119], s[48:49]
	;; [unrolled: 1-line block ×8, first 2 shown]
	v_fma_f64 v[152:153], v[80:81], s[14:15], v[121:122]
	v_fma_f64 v[121:122], v[80:81], s[16:17], v[121:122]
	v_fma_f64 v[154:155], v[80:81], s[38:39], v[123:124]
	v_fma_f64 v[123:124], v[80:81], s[36:37], v[123:124]
	v_fma_f64 v[156:157], v[80:81], s[46:47], v[125:126]
	v_fma_f64 v[125:126], v[80:81], s[50:51], v[125:126]
	v_fma_f64 v[158:159], v[80:81], s[30:31], v[136:137]
	v_fma_f64 v[136:137], v[80:81], s[26:27], v[136:137]
	v_fma_f64 v[160:161], v[80:81], s[8:9], v[138:139]
	v_fma_f64 v[138:139], v[80:81], s[6:7], v[138:139]
	v_fma_f64 v[162:163], v[80:81], s[0:1], v[140:141]
	v_fma_f64 v[140:141], v[80:81], s[4:5], v[140:141]
	v_fma_f64 v[164:165], v[80:81], s[20:21], v[142:143]
	v_fma_f64 v[142:143], v[80:81], s[22:23], v[142:143]
	v_fma_f64 v[166:167], v[80:81], s[42:43], v[118:119]
	v_fma_f64 v[80:81], v[80:81], s[44:45], v[118:119]
	s_clause 0x1
	buffer_load_dword v118, off, s[60:63], 0 offset:104
	buffer_load_dword v119, off, s[60:63], 0 offset:108
	v_add_f64 v[76:77], v[152:153], v[98:99]
	v_add_f64 v[74:75], v[121:122], v[74:75]
	;; [unrolled: 1-line block ×16, first 2 shown]
	s_waitcnt vmcnt(0)
	v_add_f64 v[104:105], v[176:177], v[118:119]
	s_clause 0x1
	buffer_load_dword v176, off, s[60:63], 0 offset:136
	buffer_load_dword v177, off, s[60:63], 0 offset:140
	v_add_f64 v[72:73], v[72:73], v[118:119]
	v_mul_f64 v[138:139], v[104:105], s[18:19]
	v_fma_f64 v[160:161], v[88:89], s[0:1], v[138:139]
	v_fma_f64 v[138:139], v[88:89], s[4:5], v[138:139]
	s_waitcnt vmcnt(0)
	v_add_f64 v[118:119], v[174:175], v[176:177]
	v_add_f64 v[72:73], v[72:73], v[176:177]
	v_mul_f64 v[121:122], v[118:119], s[34:35]
	v_mul_f64 v[123:124], v[118:119], s[54:55]
	;; [unrolled: 1-line block ×8, first 2 shown]
	v_add_f64 v[72:73], v[72:73], v[180:181]
	v_fma_f64 v[144:145], v[84:85], s[20:21], v[121:122]
	v_fma_f64 v[121:122], v[84:85], s[22:23], v[121:122]
	;; [unrolled: 1-line block ×16, first 2 shown]
	v_mul_f64 v[118:119], v[104:105], s[52:53]
	v_add_f64 v[72:73], v[72:73], v[178:179]
	v_add_f64 v[76:77], v[144:145], v[76:77]
	;; [unrolled: 1-line block ×3, first 2 shown]
	v_mul_f64 v[121:122], v[104:105], s[24:25]
	v_add_f64 v[78:79], v[123:124], v[78:79]
	v_mul_f64 v[123:124], v[104:105], s[28:29]
	v_add_f64 v[80:81], v[146:147], v[98:99]
	v_add_f64 v[98:99], v[148:149], v[100:101]
	;; [unrolled: 1-line block ×5, first 2 shown]
	v_mul_f64 v[102:103], v[104:105], s[40:41]
	v_mul_f64 v[125:126], v[104:105], s[54:55]
	;; [unrolled: 1-line block ×4, first 2 shown]
	v_add_f64 v[90:91], v[129:130], v[90:91]
	v_add_f64 v[70:71], v[84:85], v[70:71]
	v_fma_f64 v[142:143], v[88:89], s[44:45], v[118:119]
	v_fma_f64 v[118:119], v[88:89], s[42:43], v[118:119]
	v_add_f64 v[94:95], v[131:132], v[94:95]
	v_add_f64 v[96:97], v[136:137], v[96:97]
	v_mul_f64 v[129:130], v[112:113], s[54:55]
	v_add_f64 v[72:73], v[72:73], v[170:171]
	v_fma_f64 v[144:145], v[88:89], s[8:9], v[121:122]
	v_fma_f64 v[121:122], v[88:89], s[6:7], v[121:122]
	;; [unrolled: 1-line block ×12, first 2 shown]
	v_add_f64 v[104:105], v[152:153], v[106:107]
	v_add_f64 v[106:107], v[154:155], v[108:109]
	;; [unrolled: 1-line block ×4, first 2 shown]
	v_mul_f64 v[114:115], v[112:113], s[18:19]
	v_add_f64 v[78:79], v[118:119], v[78:79]
	v_add_f64 v[84:85], v[144:145], v[98:99]
	;; [unrolled: 1-line block ×4, first 2 shown]
	v_mul_f64 v[100:101], v[112:113], s[48:49]
	v_add_f64 v[86:87], v[123:124], v[86:87]
	v_mul_f64 v[118:119], v[112:113], s[52:53]
	v_mul_f64 v[121:122], v[112:113], s[34:35]
	;; [unrolled: 1-line block ×3, first 2 shown]
	v_add_f64 v[76:77], v[140:141], v[76:77]
	v_add_f64 v[74:75], v[102:103], v[74:75]
	v_mul_f64 v[102:103], v[112:113], s[40:41]
	v_mul_f64 v[112:113], v[112:113], s[28:29]
	v_add_f64 v[80:81], v[142:143], v[80:81]
	v_fma_f64 v[152:153], v[92:93], s[50:51], v[129:130]
	v_fma_f64 v[129:130], v[92:93], s[46:47], v[129:130]
	v_add_f64 v[70:71], v[88:89], v[70:71]
	v_mul_f64 v[88:89], v[116:117], s[52:53]
	v_add_f64 v[96:97], v[138:139], v[96:97]
	v_add_f64 v[94:95], v[127:128], v[94:95]
	;; [unrolled: 1-line block ×3, first 2 shown]
	v_fma_f64 v[140:141], v[92:93], s[0:1], v[114:115]
	v_fma_f64 v[114:115], v[92:93], s[4:5], v[114:115]
	v_add_f64 v[90:91], v[125:126], v[90:91]
	v_add_f64 v[108:109], v[160:161], v[108:109]
	v_add_f64 v[110:111], v[162:163], v[110:111]
	v_fma_f64 v[131:132], v[92:93], s[38:39], v[100:101]
	v_fma_f64 v[100:101], v[92:93], s[36:37], v[100:101]
	;; [unrolled: 1-line block ×12, first 2 shown]
	v_mul_f64 v[125:126], v[116:117], s[54:55]
	v_fma_f64 v[112:113], v[68:69], s[42:43], v[88:89]
	v_add_f64 v[96:97], v[129:130], v[96:97]
	v_fma_f64 v[88:89], v[68:69], s[44:45], v[88:89]
	v_mul_f64 v[138:139], v[127:128], s[54:55]
	v_add_f64 v[106:107], v[150:151], v[106:107]
	v_add_f64 v[82:83], v[114:115], v[82:83]
	v_mul_f64 v[114:115], v[116:117], s[48:49]
	v_add_f64 v[84:85], v[140:141], v[84:85]
	v_add_f64 v[104:105], v[148:149], v[104:105]
	;; [unrolled: 1-line block ×4, first 2 shown]
	v_mul_f64 v[100:101], v[116:117], s[28:29]
	v_add_f64 v[86:87], v[118:119], v[86:87]
	v_mul_f64 v[118:119], v[116:117], s[18:19]
	v_add_f64 v[90:91], v[121:122], v[90:91]
	;; [unrolled: 2-line block ×3, first 2 shown]
	v_add_f64 v[78:79], v[102:103], v[78:79]
	v_mul_f64 v[102:103], v[116:117], s[34:35]
	v_mul_f64 v[116:117], v[116:117], s[40:41]
	v_add_f64 v[70:71], v[92:93], v[70:71]
	v_add_f64 v[94:95], v[123:124], v[94:95]
	;; [unrolled: 1-line block ×5, first 2 shown]
	v_mul_f64 v[140:141], v[127:128], s[18:19]
	v_add_f64 v[106:107], v[146:147], v[106:107]
	v_mul_f64 v[142:143], v[127:128], s[28:29]
	v_fma_f64 v[92:93], v[68:69], s[36:37], v[114:115]
	v_add_f64 v[104:105], v[144:145], v[104:105]
	v_add_f64 v[76:77], v[112:113], v[76:77]
	v_fma_f64 v[112:113], v[68:69], s[38:39], v[114:115]
	s_clause 0x3
	buffer_load_dword v114, off, s[60:63], 0 offset:8
	buffer_load_dword v115, off, s[60:63], 0 offset:12
	;; [unrolled: 1-line block ×4, first 2 shown]
	v_add_f64 v[74:75], v[88:89], v[74:75]
	v_fma_f64 v[121:122], v[68:69], s[16:17], v[100:101]
	v_fma_f64 v[100:101], v[68:69], s[14:15], v[100:101]
	;; [unrolled: 1-line block ×5, first 2 shown]
	v_add_f64 v[92:93], v[92:93], v[98:99]
	v_mul_f64 v[98:99], v[127:128], s[40:41]
	v_add_f64 v[86:87], v[112:113], v[86:87]
	v_add_f64 v[80:81], v[121:122], v[80:81]
	;; [unrolled: 1-line block ×3, first 2 shown]
	v_fma_f64 v[100:101], v[68:69], s[8:9], v[131:132]
	v_fma_f64 v[121:122], v[68:69], s[50:51], v[125:126]
	;; [unrolled: 1-line block ×3, first 2 shown]
	v_add_f64 v[84:85], v[123:124], v[84:85]
	v_mul_f64 v[123:124], v[127:128], s[52:53]
	v_fma_f64 v[131:132], v[68:69], s[6:7], v[131:132]
	v_add_f64 v[82:83], v[102:103], v[82:83]
	v_mul_f64 v[102:103], v[127:128], s[24:25]
	v_add_f64 v[100:101], v[100:101], v[108:109]
	v_add_f64 v[108:109], v[136:137], v[110:111]
	;; [unrolled: 1-line block ×5, first 2 shown]
	s_waitcnt vmcnt(0)
	v_add_f64 v[114:115], v[114:115], -v[129:130]
	v_fma_f64 v[129:130], v[68:69], s[0:1], v[118:119]
	v_fma_f64 v[118:119], v[68:69], s[4:5], v[118:119]
	;; [unrolled: 1-line block ×3, first 2 shown]
	v_mul_f64 v[116:117], v[127:128], s[48:49]
	v_mul_f64 v[127:128], v[127:128], s[34:35]
	v_fma_f64 v[88:89], v[114:115], s[46:47], v[138:139]
	v_fma_f64 v[110:111], v[114:115], s[50:51], v[138:139]
	;; [unrolled: 1-line block ×4, first 2 shown]
	v_add_f64 v[104:105], v[129:130], v[104:105]
	v_fma_f64 v[125:126], v[114:115], s[8:9], v[102:103]
	v_fma_f64 v[102:103], v[114:115], s[6:7], v[102:103]
	;; [unrolled: 1-line block ×4, first 2 shown]
	v_add_f64 v[90:91], v[118:119], v[90:91]
	v_fma_f64 v[118:119], v[114:115], s[0:1], v[140:141]
	v_fma_f64 v[140:141], v[114:115], s[26:27], v[98:99]
	v_add_f64 v[68:69], v[68:69], v[70:71]
	v_fma_f64 v[70:71], v[114:115], s[22:23], v[127:128]
	v_fma_f64 v[127:128], v[114:115], s[20:21], v[127:128]
	;; [unrolled: 1-line block ×6, first 2 shown]
	v_add_f64 v[74:75], v[88:89], v[74:75]
	buffer_load_dword v88, off, s[60:63], 0 offset:4 ; 4-byte Folded Reload
	v_add_f64 v[76:77], v[110:111], v[76:77]
	v_add_f64 v[80:81], v[112:113], v[80:81]
	;; [unrolled: 1-line block ×7, first 2 shown]
	v_mov_b32_e32 v106, 3
	v_add_f64 v[78:79], v[118:119], v[78:79]
	v_add_f64 v[100:101], v[140:141], v[100:101]
	;; [unrolled: 1-line block ×8, first 2 shown]
	v_lshlrev_b32_sdwa v98, v106, v120 dst_sel:DWORD dst_unused:UNUSED_PAD src0_sel:DWORD src1_sel:BYTE_0
	s_waitcnt vmcnt(0)
	v_add3_u32 v88, 0, v98, v88
	v_add_nc_u32_e32 v89, 0x800, v88
	v_add_nc_u32_e32 v98, 0x1000, v88
	ds_write2_b64 v89, v[72:73], v[76:77] offset0:220 offset1:227
	ds_write2_b64 v89, v[80:81], v[84:85] offset0:234 offset1:241
	;; [unrolled: 1-line block ×8, first 2 shown]
	ds_write_b64 v88, v[74:75] offset:4704
.LBB0_20:
	s_or_b32 exec_lo, exec_lo, s33
	s_waitcnt lgkmcnt(0)
	s_barrier
	buffer_gl0_inv
	s_and_saveexec_b32 s0, vcc_lo
	s_cbranch_execz .LBB0_22
; %bb.21:
	v_lshlrev_b32_e32 v102, 2, v238
	v_mov_b32_e32 v101, 0
	v_add_nc_u32_e32 v246, 0x1000, v239
	v_mul_lo_u32 v248, s3, v234
	v_mul_lo_u32 v249, s2, v235
	v_add_nc_u32_e32 v100, 0x198, v102
	v_mov_b32_e32 v103, v101
	v_add_nc_u32_e32 v250, 0x400, v239
	s_mov_b32 s6, 0x134454ff
	s_mov_b32 s7, 0x3fee6f0e
	v_lshlrev_b64 v[68:69], 4, v[100:101]
	v_add_nc_u32_e32 v100, 0x154, v102
	s_mov_b32 s9, 0xbfee6f0e
	s_mov_b32 s8, s6
	;; [unrolled: 1-line block ×4, first 2 shown]
	v_lshlrev_b64 v[70:71], 4, v[100:101]
	v_add_co_u32 v104, vcc_lo, s12, v68
	v_add_co_ci_u32_e32 v105, vcc_lo, s13, v69, vcc_lo
	v_add_nc_u32_e32 v100, 0x110, v102
	v_add_co_u32 v92, vcc_lo, s12, v70
	v_add_co_ci_u32_e32 v93, vcc_lo, s13, v71, vcc_lo
	v_lshlrev_b64 v[76:77], 4, v[100:101]
	s_clause 0x3
	global_load_dwordx4 v[68:71], v[104:105], off offset:1808
	global_load_dwordx4 v[72:75], v[92:93], off offset:1808
	;; [unrolled: 1-line block ×4, first 2 shown]
	v_add_nc_u32_e32 v100, 0xcc, v102
	v_lshlrev_b64 v[102:103], 4, v[102:103]
	v_add_co_u32 v106, vcc_lo, s12, v76
	v_add_co_ci_u32_e32 v107, vcc_lo, s13, v77, vcc_lo
	s_clause 0x3
	global_load_dwordx4 v[76:79], v[92:93], off offset:1824
	global_load_dwordx4 v[84:87], v[106:107], off offset:1824
	;; [unrolled: 1-line block ×4, first 2 shown]
	v_lshlrev_b64 v[112:113], 4, v[100:101]
	global_load_dwordx4 v[92:95], v[106:107], off offset:1792
	v_add_nc_u32_e32 v100, 34, v238
	s_mov_b32 s3, 0x3fe2cf23
	s_mov_b32 s0, 0x372fe950
	s_mov_b32 s1, 0x3fd3c6ef
	v_add_co_u32 v132, vcc_lo, s12, v112
	v_add_co_ci_u32_e32 v133, vcc_lo, s13, v113, vcc_lo
	v_add_co_u32 v102, vcc_lo, s12, v102
	v_add_co_ci_u32_e32 v103, vcc_lo, s13, v103, vcc_lo
	s_clause 0x8
	global_load_dwordx4 v[112:115], v[132:133], off offset:1808
	global_load_dwordx4 v[116:119], v[104:105], off offset:1792
	;; [unrolled: 1-line block ×9, first 2 shown]
	v_lshlrev_b32_e32 v100, 2, v100
	s_clause 0x1
	global_load_dwordx4 v[152:155], v[132:133], off offset:1824
	global_load_dwordx4 v[156:159], v[132:133], off offset:1792
	v_lshlrev_b64 v[102:103], 4, v[100:101]
	v_add_nc_u32_e32 v100, 17, v238
	v_add_co_u32 v102, vcc_lo, s12, v102
	v_add_co_ci_u32_e32 v103, vcc_lo, s13, v103, vcc_lo
	s_clause 0x3
	global_load_dwordx4 v[160:163], v[102:103], off offset:1808
	global_load_dwordx4 v[164:167], v[102:103], off offset:1792
	;; [unrolled: 1-line block ×4, first 2 shown]
	v_lshlrev_b32_e32 v100, 2, v100
	v_lshlrev_b64 v[104:105], 4, v[100:101]
	v_add_nc_u32_e32 v100, 0x800, v239
	v_add_co_u32 v102, vcc_lo, s12, v104
	v_add_co_ci_u32_e32 v103, vcc_lo, s13, v105, vcc_lo
	s_clause 0x3
	global_load_dwordx4 v[176:179], v[102:103], off offset:1808
	global_load_dwordx4 v[180:183], v[102:103], off offset:1792
	;; [unrolled: 1-line block ×4, first 2 shown]
	ds_read2_b64 v[104:107], v100 offset0:67 offset1:84
	ds_read2_b64 v[192:195], v246 offset0:49 offset1:66
	;; [unrolled: 1-line block ×6, first 2 shown]
	v_mad_u64_u32 v[102:103], null, s2, v234, 0
	ds_read2_b64 v[212:215], v239 offset0:51 offset1:68
	ds_read2_b64 v[216:219], v239 offset0:153 offset1:170
	;; [unrolled: 1-line block ×3, first 2 shown]
	s_mov_b32 s2, s4
	v_add3_u32 v103, v103, v249, v248
	s_waitcnt vmcnt(27)
	v_mul_f64 v[132:133], v[66:67], v[70:71]
	s_waitcnt lgkmcnt(8)
	v_mul_f64 v[70:71], v[106:107], v[70:71]
	s_waitcnt vmcnt(26)
	v_mul_f64 v[224:225], v[64:65], v[74:75]
	s_waitcnt vmcnt(25)
	v_mul_f64 v[226:227], v[62:63], v[90:91]
	s_waitcnt lgkmcnt(7)
	v_mul_f64 v[90:91], v[194:195], v[90:91]
	v_mul_f64 v[74:75], v[104:105], v[74:75]
	s_waitcnt vmcnt(24)
	v_mul_f64 v[228:229], v[60:61], v[82:83]
	v_mul_f64 v[82:83], v[192:193], v[82:83]
	s_waitcnt vmcnt(23)
	v_mul_f64 v[230:231], v[58:59], v[78:79]
	s_waitcnt vmcnt(22)
	v_mul_f64 v[236:237], v[56:57], v[86:87]
	s_waitcnt lgkmcnt(4)
	v_mul_f64 v[234:235], v[206:207], v[78:79]
	s_waitcnt vmcnt(21)
	v_mul_f64 v[242:243], v[54:55], v[98:99]
	s_waitcnt lgkmcnt(3)
	v_mul_f64 v[98:99], v[210:211], v[98:99]
	s_waitcnt vmcnt(19)
	v_mul_f64 v[244:245], v[52:53], v[94:95]
	v_mul_f64 v[94:95], v[208:209], v[94:95]
	v_fma_f64 v[106:107], v[106:107], v[68:69], -v[132:133]
	v_fma_f64 v[132:133], v[66:67], v[68:69], v[70:71]
	ds_read2_b64 v[66:69], v100 offset0:33 offset1:50
	v_fma_f64 v[224:225], v[104:105], v[72:73], -v[224:225]
	v_mul_f64 v[104:105], v[204:205], v[86:87]
	v_fma_f64 v[226:227], v[194:195], v[88:89], -v[226:227]
	v_fma_f64 v[90:91], v[62:63], v[88:89], v[90:91]
	ds_read2_b64 v[86:89], v246 offset0:15 offset1:32
	v_mul_f64 v[246:247], v[50:51], v[110:111]
	v_fma_f64 v[240:241], v[64:65], v[72:73], v[74:75]
	ds_read2_b64 v[62:65], v100 offset0:203 offset1:220
	ds_read2_b64 v[70:73], v239 offset0:119 offset1:136
	v_fma_f64 v[228:229], v[192:193], v[80:81], -v[228:229]
	v_fma_f64 v[82:83], v[60:61], v[80:81], v[82:83]
	ds_read2_b64 v[78:81], v100 offset0:135 offset1:152
	v_fma_f64 v[206:207], v[206:207], v[76:77], -v[230:231]
	v_fma_f64 v[230:231], v[58:59], v[76:77], v[234:235]
	v_fma_f64 v[204:205], v[204:205], v[84:85], -v[236:237]
	ds_read2_b64 v[58:61], v250 offset0:127 offset1:144
	s_waitcnt vmcnt(18)
	v_mul_f64 v[234:235], v[48:49], v[114:115]
	ds_read2_b64 v[74:77], v100 offset0:237 offset1:254
	ds_read2_b64 v[192:195], v100 offset0:101 offset1:118
	v_fma_f64 v[54:55], v[54:55], v[96:97], v[98:99]
	s_waitcnt lgkmcnt(7)
	v_mul_f64 v[110:111], v[68:69], v[110:111]
	v_fma_f64 v[52:53], v[52:53], v[92:93], v[94:95]
	s_waitcnt vmcnt(13)
	v_mul_f64 v[94:95], v[18:19], v[138:139]
	s_waitcnt vmcnt(11)
	v_mul_f64 v[236:237], v[46:47], v[146:147]
	v_fma_f64 v[56:57], v[56:57], v[84:85], v[104:105]
	v_mul_f64 v[84:85], v[66:67], v[114:115]
	v_fma_f64 v[114:115], v[210:211], v[96:97], -v[242:243]
	v_mul_f64 v[96:97], v[16:17], v[122:123]
	s_waitcnt lgkmcnt(5)
	v_mul_f64 v[98:99], v[62:63], v[122:123]
	v_fma_f64 v[122:123], v[208:209], v[92:93], -v[244:245]
	v_mul_f64 v[208:209], v[10:11], v[126:127]
	v_mul_f64 v[104:105], v[8:9], v[118:119]
	;; [unrolled: 1-line block ×3, first 2 shown]
	v_fma_f64 v[68:69], v[68:69], v[108:109], -v[246:247]
	v_mul_f64 v[92:93], v[4:5], v[130:131]
	s_waitcnt lgkmcnt(4)
	v_mul_f64 v[130:131], v[70:71], v[130:131]
	v_mul_f64 v[210:211], v[12:13], v[142:143]
	v_mul_hi_u32 v100, 0x44d72045, v238
	s_waitcnt lgkmcnt(0)
	v_mul_f64 v[142:143], v[192:193], v[142:143]
	v_fma_f64 v[66:67], v[66:67], v[112:113], -v[234:235]
	v_fma_f64 v[50:51], v[50:51], v[108:109], v[110:111]
	v_mul_f64 v[110:111], v[198:199], v[126:127]
	v_mul_f64 v[108:109], v[88:89], v[146:147]
	s_waitcnt vmcnt(10)
	v_mul_f64 v[126:127], v[44:45], v[150:151]
	s_waitcnt vmcnt(9)
	v_mul_f64 v[146:147], v[42:43], v[154:155]
	v_fma_f64 v[48:49], v[48:49], v[112:113], v[84:85]
	v_mul_f64 v[112:113], v[64:65], v[138:139]
	v_mul_f64 v[84:85], v[86:87], v[150:151]
	v_fma_f64 v[62:63], v[62:63], v[120:121], -v[96:97]
	v_fma_f64 v[16:17], v[16:17], v[120:121], v[98:99]
	v_mul_f64 v[96:97], v[80:81], v[154:155]
	s_waitcnt vmcnt(8)
	v_mul_f64 v[98:99], v[218:219], v[158:159]
	v_fma_f64 v[120:121], v[196:197], v[116:117], -v[104:105]
	v_fma_f64 v[8:9], v[8:9], v[116:117], v[118:119]
	v_fma_f64 v[104:105], v[64:65], v[136:137], -v[94:95]
	s_waitcnt vmcnt(5)
	v_mul_f64 v[64:65], v[40:41], v[170:171]
	v_fma_f64 v[88:89], v[88:89], v[144:145], -v[236:237]
	v_mul_f64 v[138:139], v[38:39], v[158:159]
	v_fma_f64 v[154:155], v[70:71], v[128:129], -v[92:93]
	s_waitcnt vmcnt(3)
	v_mul_f64 v[70:71], v[32:33], v[178:179]
	v_mul_f64 v[116:117], v[34:35], v[162:163]
	;; [unrolled: 1-line block ×4, first 2 shown]
	v_fma_f64 v[110:111], v[10:11], v[124:125], v[110:111]
	buffer_load_dword v10, off, s[60:63], 0 ; 4-byte Folded Reload
	v_fma_f64 v[46:47], v[46:47], v[144:145], v[108:109]
	v_mul_f64 v[144:145], v[78:79], v[170:171]
	v_fma_f64 v[86:87], v[86:87], v[148:149], -v[126:127]
	v_fma_f64 v[80:81], v[80:81], v[152:153], -v[146:147]
	v_fma_f64 v[44:45], v[44:45], v[148:149], v[84:85]
	s_waitcnt vmcnt(3)
	v_mul_f64 v[84:85], v[6:7], v[182:183]
	s_waitcnt vmcnt(1)
	v_mul_f64 v[148:149], v[28:29], v[190:191]
	v_fma_f64 v[42:43], v[42:43], v[152:153], v[96:97]
	v_mul_f64 v[96:97], v[58:59], v[178:179]
	v_mul_f64 v[146:147], v[194:195], v[186:187]
	v_fma_f64 v[98:99], v[38:39], v[156:157], v[98:99]
	v_mul_f64 v[38:39], v[72:73], v[182:183]
	v_fma_f64 v[64:65], v[78:79], v[168:169], -v[64:65]
	v_add_f64 v[158:159], v[120:121], v[202:203]
	v_mul_f64 v[108:109], v[60:61], v[162:163]
	v_mul_f64 v[126:127], v[216:217], v[166:167]
	;; [unrolled: 1-line block ×5, first 2 shown]
	v_fma_f64 v[174:175], v[58:59], v[176:177], -v[70:71]
	v_add_f64 v[58:59], v[114:115], v[200:201]
	v_add_f64 v[70:71], v[24:25], v[54:55]
	v_fma_f64 v[138:139], v[218:219], v[156:157], -v[138:139]
	v_fma_f64 v[144:145], v[40:41], v[168:169], v[144:145]
	v_add_f64 v[168:169], v[26:27], v[8:9]
	v_fma_f64 v[60:61], v[60:61], v[160:161], -v[116:117]
	v_fma_f64 v[116:117], v[216:217], v[164:165], -v[118:119]
	;; [unrolled: 1-line block ×5, first 2 shown]
	v_fma_f64 v[176:177], v[32:33], v[176:177], v[96:97]
	v_fma_f64 v[146:147], v[14:15], v[184:185], v[146:147]
	v_add_f64 v[14:15], v[122:123], v[214:215]
	v_add_f64 v[32:33], v[22:23], v[52:53]
	v_fma_f64 v[180:181], v[6:7], v[180:181], v[38:39]
	v_add_f64 v[38:39], v[106:107], v[158:159]
	v_fma_f64 v[34:35], v[34:35], v[160:161], v[108:109]
	v_fma_f64 v[40:41], v[36:37], v[164:165], v[126:127]
	;; [unrolled: 1-line block ×3, first 2 shown]
	v_add_f64 v[78:79], v[132:133], -v[16:17]
	v_add_f64 v[36:37], v[120:121], v[226:227]
	v_add_f64 v[94:95], v[8:9], -v[90:91]
	v_add_f64 v[156:157], v[106:107], v[62:63]
	v_add_f64 v[160:161], v[132:133], -v[8:9]
	v_add_f64 v[162:163], v[16:17], -v[90:91]
	v_add_f64 v[164:165], v[8:9], v[90:91]
	v_add_f64 v[74:75], v[132:133], v[168:169]
	v_add_f64 v[170:171], v[8:9], -v[132:133]
	v_add_f64 v[172:173], v[90:91], -v[16:17]
	v_add_f64 v[8:9], v[132:133], v[16:17]
	v_fma_f64 v[182:183], v[194:195], v[184:185], -v[92:93]
	v_add_f64 v[6:7], v[114:115], v[228:229]
	v_add_f64 v[132:133], v[224:225], v[206:207]
	;; [unrolled: 1-line block ×9, first 2 shown]
	v_add_f64 v[30:31], v[106:107], -v[120:121]
	v_add_f64 v[76:77], v[62:63], -v[226:227]
	;; [unrolled: 1-line block ×6, first 2 shown]
	v_fma_f64 v[152:153], v[28:29], v[188:189], v[152:153]
	v_add_f64 v[28:29], v[224:225], -v[114:115]
	v_add_f64 v[16:17], v[74:75], v[16:17]
	v_add_f64 v[72:73], v[206:207], -v[228:229]
	v_add_f64 v[84:85], v[240:241], -v[230:231]
	;; [unrolled: 1-line block ×9, first 2 shown]
	v_add_f64 v[218:219], v[122:123], v[88:89]
	v_add_f64 v[74:75], v[122:123], -v[68:69]
	v_fma_f64 v[224:225], v[36:37], -0.5, v[202:203]
	v_fma_f64 v[156:157], v[156:157], -0.5, v[202:203]
	;; [unrolled: 1-line block ×4, first 2 shown]
	v_add_f64 v[200:201], v[88:89], -v[204:205]
	v_add_f64 v[234:235], v[68:69], v[204:205]
	v_add_f64 v[36:37], v[206:207], v[58:59]
	;; [unrolled: 1-line block ×6, first 2 shown]
	v_fma_f64 v[164:165], v[164:165], -0.5, v[26:27]
	v_fma_f64 v[26:27], v[8:9], -0.5, v[26:27]
	;; [unrolled: 1-line block ×4, first 2 shown]
	v_add_f64 v[190:191], v[138:139], v[86:87]
	v_add_f64 v[236:237], v[66:67], v[80:81]
	v_add_f64 v[68:69], v[68:69], -v[204:205]
	v_add_f64 v[204:205], v[50:51], v[56:57]
	v_add_f64 v[8:9], v[226:227], v[38:39]
	;; [unrolled: 1-line block ×5, first 2 shown]
	v_add_f64 v[92:93], v[54:55], -v[82:83]
	v_add_f64 v[158:159], v[240:241], -v[54:55]
	;; [unrolled: 1-line block ×10, first 2 shown]
	v_add_f64 v[16:17], v[228:229], v[36:37]
	v_add_f64 v[14:15], v[58:59], v[82:83]
	;; [unrolled: 1-line block ×7, first 2 shown]
	v_fma_f64 v[88:89], v[218:219], -0.5, v[214:215]
	v_fma_f64 v[190:191], v[190:191], -0.5, v[212:213]
	;; [unrolled: 1-line block ×3, first 2 shown]
	v_add_f64 v[212:213], v[138:139], v[212:213]
	v_fma_f64 v[206:207], v[206:207], -0.5, v[22:23]
	v_fma_f64 v[22:23], v[204:205], -0.5, v[22:23]
	;; [unrolled: 1-line block ×4, first 2 shown]
	v_add_f64 v[20:21], v[20:21], v[98:99]
	v_add_f64 v[30:31], v[30:31], v[76:77]
	v_add_f64 v[76:77], v[138:139], -v[66:67]
	v_add_f64 v[108:109], v[108:109], v[150:151]
	v_add_f64 v[150:151], v[86:87], -v[80:81]
	;; [unrolled: 2-line block ×3, first 2 shown]
	v_add_f64 v[170:171], v[170:171], v[172:173]
	v_add_f64 v[172:173], v[116:117], v[222:223]
	v_fma_f64 v[58:59], v[58:59], -0.5, v[222:223]
	v_fma_f64 v[82:83], v[82:83], -0.5, v[222:223]
	v_add_f64 v[230:231], v[28:29], v[72:73]
	v_add_f64 v[28:29], v[98:99], -v[48:49]
	v_fma_f64 v[222:223], v[46:47], -0.5, v[220:221]
	v_add_f64 v[46:47], v[42:43], -v[44:45]
	v_add_f64 v[96:97], v[96:97], v[106:107]
	v_add_f64 v[72:73], v[44:45], -v[42:43]
	v_add_f64 v[106:107], v[158:159], v[168:169]
	;; [unrolled: 2-line block ×3, first 2 shown]
	v_add_f64 v[188:189], v[54:55], v[188:189]
	v_add_f64 v[54:55], v[60:61], -v[116:117]
	v_add_f64 v[20:21], v[48:49], v[20:21]
	v_add_f64 v[48:49], v[64:65], -v[118:119]
	v_add_f64 v[114:115], v[114:115], -v[228:229]
	v_fma_f64 v[214:215], v[234:235], -0.5, v[214:215]
	v_add_f64 v[228:229], v[66:67], -v[138:139]
	v_add_f64 v[226:227], v[80:81], -v[86:87]
	v_add_f64 v[194:195], v[194:195], v[196:197]
	v_add_f64 v[196:197], v[116:117], -v[60:61]
	v_add_f64 v[200:201], v[74:75], v[200:201]
	;; [unrolled: 2-line block ×5, first 2 shown]
	v_add_f64 v[76:77], v[76:77], v[150:151]
	v_add_f64 v[70:71], v[40:41], -v[34:35]
	v_add_f64 v[150:151], v[162:163], v[46:47]
	v_add_f64 v[46:47], v[126:127], -v[144:145]
	v_add_f64 v[162:163], v[28:29], v[72:73]
	v_add_f64 v[28:29], v[34:35], v[144:145]
	v_add_f64 v[66:67], v[66:67], -v[80:81]
	v_add_f64 v[72:73], v[80:81], v[168:169]
	v_add_f64 v[80:81], v[2:3], v[40:41]
	;; [unrolled: 1-line block ×6, first 2 shown]
	v_add_f64 v[98:99], v[98:99], -v[44:45]
	v_add_f64 v[42:43], v[34:35], -v[144:145]
	;; [unrolled: 1-line block ×3, first 2 shown]
	v_add_f64 v[196:197], v[196:197], v[74:75]
	v_fma_f64 v[54:55], v[78:79], s[6:7], v[224:225]
	v_fma_f64 v[60:61], v[78:79], s[8:9], v[224:225]
	v_add_f64 v[32:33], v[178:179], v[148:149]
	v_add_f64 v[224:225], v[52:53], v[50:51]
	v_fma_f64 v[50:51], v[56:57], -0.5, v[2:3]
	v_fma_f64 v[52:53], v[94:95], s[8:9], v[156:157]
	v_fma_f64 v[56:57], v[94:95], s[6:7], v[156:157]
	v_add_f64 v[138:139], v[138:139], -v[86:87]
	v_add_f64 v[156:157], v[70:71], v[46:47]
	v_fma_f64 v[46:47], v[166:167], s[6:7], v[164:165]
	v_fma_f64 v[2:3], v[28:29], -0.5, v[2:3]
	v_fma_f64 v[28:29], v[166:167], s[8:9], v[164:165]
	v_add_f64 v[74:75], v[86:87], v[72:73]
	v_add_f64 v[164:165], v[34:35], v[80:81]
	v_fma_f64 v[34:35], v[120:121], s[6:7], v[26:27]
	v_fma_f64 v[26:27], v[120:121], s[8:9], v[26:27]
	v_add_f64 v[72:73], v[20:21], v[44:45]
	v_fma_f64 v[20:21], v[84:85], s[6:7], v[202:203]
	v_fma_f64 v[44:45], v[84:85], s[8:9], v[202:203]
	;; [unrolled: 1-line block ×4, first 2 shown]
	v_add_f64 v[132:133], v[64:65], v[48:49]
	v_fma_f64 v[48:49], v[186:187], s[8:9], v[184:185]
	v_fma_f64 v[64:65], v[186:187], s[6:7], v[184:185]
	;; [unrolled: 1-line block ×4, first 2 shown]
	v_fma_f64 v[32:33], v[32:33], -0.5, v[220:221]
	v_add_f64 v[40:41], v[40:41], -v[126:127]
	v_add_f64 v[172:173], v[176:177], -v[146:147]
	v_fma_f64 v[54:55], v[94:95], s[4:5], v[54:55]
	v_fma_f64 v[60:61], v[94:95], s[2:3], v[60:61]
	;; [unrolled: 1-line block ×30, first 2 shown]
	v_add_f64 v[116:117], v[116:117], -v[118:119]
	v_fma_f64 v[120:121], v[216:217], s[2:3], v[120:121]
	v_fma_f64 v[206:207], v[42:43], s[6:7], v[58:59]
	;; [unrolled: 1-line block ×9, first 2 shown]
	v_add_f64 v[218:219], v[180:181], -v[152:153]
	v_fma_f64 v[98:99], v[158:159], s[4:5], v[114:115]
	v_fma_f64 v[114:115], v[158:159], s[2:3], v[190:191]
	v_fma_f64 v[78:79], v[62:63], s[4:5], v[78:79]
	v_fma_f64 v[62:63], v[62:63], s[2:3], v[88:89]
	v_fma_f64 v[88:89], v[138:139], s[6:7], v[204:205]
	v_fma_f64 v[204:205], v[138:139], s[8:9], v[204:205]
	v_fma_f64 v[94:95], v[216:217], s[4:5], v[94:95]
	v_fma_f64 v[82:83], v[68:69], s[2:3], v[20:21]
	v_fma_f64 v[68:69], v[68:69], s[4:5], v[22:23]
	v_fma_f64 v[20:21], v[228:229], s[8:9], v[50:51]
	v_fma_f64 v[22:23], v[228:229], s[6:7], v[50:51]
	v_add_f64 v[158:159], v[174:175], -v[178:179]
	v_fma_f64 v[190:191], v[138:139], s[2:3], v[24:25]
	v_fma_f64 v[138:139], v[138:139], s[4:5], v[90:91]
	v_add_f64 v[216:217], v[182:183], -v[148:149]
	v_fma_f64 v[245:246], v[172:173], s[6:7], v[32:33]
	v_fma_f64 v[247:248], v[172:173], s[8:9], v[32:33]
	;; [unrolled: 1-line block ×14, first 2 shown]
	v_fma_f64 v[114:115], v[198:199], v[124:125], -v[208:209]
	v_fma_f64 v[122:123], v[192:193], v[140:141], -v[210:211]
	v_fma_f64 v[120:121], v[4:5], v[128:129], v[130:131]
	v_fma_f64 v[18:19], v[18:19], v[136:137], v[112:113]
	v_add_f64 v[128:129], v[164:165], v[144:145]
	v_fma_f64 v[136:137], v[12:13], v[140:141], v[142:143]
	v_add_f64 v[112:113], v[180:181], v[152:153]
	v_add_f64 v[142:143], v[176:177], v[146:147]
	;; [unrolled: 1-line block ×3, first 2 shown]
	v_fma_f64 v[88:89], v[66:67], s[2:3], v[88:89]
	v_fma_f64 v[204:205], v[66:67], s[4:5], v[204:205]
	;; [unrolled: 1-line block ×7, first 2 shown]
	v_add_f64 v[130:131], v[158:159], v[216:217]
	v_fma_f64 v[124:125], v[218:219], s[4:5], v[245:246]
	v_fma_f64 v[138:139], v[218:219], s[2:3], v[247:248]
	v_add_f64 v[140:141], v[178:179], -v[174:175]
	v_add_f64 v[144:145], v[148:149], -v[182:183]
	v_add_f64 v[160:161], v[154:155], v[104:105]
	v_fma_f64 v[241:242], v[42:43], s[4:5], v[26:27]
	v_fma_f64 v[26:27], v[30:31], s[0:1], v[54:55]
	;; [unrolled: 1-line block ×5, first 2 shown]
	v_add_f64 v[12:13], v[118:119], v[132:133]
	v_add_f64 v[118:119], v[114:115], v[122:123]
	v_add_f64 v[132:133], v[120:121], v[18:19]
	v_fma_f64 v[30:31], v[30:31], s[0:1], v[60:61]
	v_fma_f64 v[60:61], v[234:235], s[0:1], v[82:83]
	;; [unrolled: 1-line block ×7, first 2 shown]
	v_fma_f64 v[166:167], v[112:113], -0.5, v[0:1]
	s_waitcnt vmcnt(0)
	ds_read_b64 v[164:165], v10
	v_add_f64 v[10:11], v[128:129], v[126:127]
	v_add_f64 v[126:127], v[110:111], v[136:137]
	v_fma_f64 v[128:129], v[142:143], -0.5, v[0:1]
	v_add_f64 v[0:1], v[0:1], v[180:181]
	v_fma_f64 v[243:244], v[42:43], s[2:3], v[34:35]
	v_fma_f64 v[22:23], v[108:109], s[0:1], v[52:53]
	;; [unrolled: 1-line block ×9, first 2 shown]
	v_add_f64 v[162:163], v[174:175], v[220:221]
	v_fma_f64 v[106:107], v[224:225], s[0:1], v[116:117]
	v_add_f64 v[168:169], v[174:175], -v[182:183]
	v_fma_f64 v[112:113], v[130:131], s[0:1], v[124:125]
	v_fma_f64 v[116:117], v[130:131], s[0:1], v[138:139]
	v_add_f64 v[130:131], v[140:141], v[144:145]
	v_add_f64 v[140:141], v[110:111], -v[136:137]
	s_waitcnt lgkmcnt(0)
	v_fma_f64 v[142:143], v[160:161], -0.5, v[164:165]
	v_fma_f64 v[96:97], v[156:157], s[0:1], v[96:97]
	v_fma_f64 v[2:3], v[156:157], s[0:1], v[2:3]
	v_add_f64 v[156:157], v[120:121], -v[18:19]
	v_fma_f64 v[118:119], v[118:119], -0.5, v[164:165]
	v_add_f64 v[160:161], v[154:155], v[164:165]
	v_fma_f64 v[132:133], v[132:133], -0.5, v[134:135]
	v_fma_f64 v[126:127], v[126:127], -0.5, v[134:135]
	v_add_f64 v[134:135], v[134:135], v[120:121]
	v_fma_f64 v[138:139], v[172:173], s[4:5], v[150:151]
	v_fma_f64 v[144:145], v[172:173], s[2:3], v[158:159]
	v_add_f64 v[172:173], v[154:155], -v[104:105]
	v_add_f64 v[124:125], v[178:179], -v[148:149]
	;; [unrolled: 1-line block ×3, first 2 shown]
	v_add_f64 v[0:1], v[176:177], v[0:1]
	v_fma_f64 v[20:21], v[170:171], s[0:1], v[184:185]
	v_add_f64 v[150:151], v[182:183], v[162:163]
	v_add_f64 v[158:159], v[176:177], -v[180:181]
	v_add_f64 v[162:163], v[146:147], -v[152:153]
	v_fma_f64 v[170:171], v[168:169], s[8:9], v[166:167]
	v_fma_f64 v[166:167], v[168:169], s[6:7], v[166:167]
	v_add_f64 v[174:175], v[180:181], -v[176:177]
	v_add_f64 v[178:179], v[152:153], -v[146:147]
	;; [unrolled: 1-line block ×4, first 2 shown]
	v_fma_f64 v[184:185], v[140:141], s[6:7], v[142:143]
	v_fma_f64 v[142:143], v[140:141], s[8:9], v[142:143]
	v_fma_f64 v[50:51], v[230:231], s[0:1], v[44:45]
	v_fma_f64 v[44:45], v[188:189], s[0:1], v[86:87]
	v_fma_f64 v[52:53], v[188:189], s[0:1], v[186:187]
	v_add_f64 v[154:155], v[154:155], -v[114:115]
	v_add_f64 v[186:187], v[104:105], -v[122:123]
	v_fma_f64 v[188:189], v[156:157], s[8:9], v[118:119]
	v_fma_f64 v[118:119], v[156:157], s[6:7], v[118:119]
	v_add_f64 v[114:115], v[114:115], v[160:161]
	v_add_f64 v[160:161], v[110:111], -v[120:121]
	v_add_f64 v[194:195], v[120:121], -v[110:111]
	v_add_f64 v[110:111], v[110:111], v[134:135]
	v_fma_f64 v[98:99], v[196:197], s[0:1], v[241:242]
	v_fma_f64 v[4:5], v[196:197], s[0:1], v[243:244]
	v_add_f64 v[196:197], v[18:19], -v[136:137]
	v_fma_f64 v[198:199], v[172:173], s[8:9], v[126:127]
	v_fma_f64 v[180:181], v[124:125], s[6:7], v[128:129]
	v_add_f64 v[190:191], v[136:137], -v[18:19]
	v_fma_f64 v[192:193], v[164:165], s[8:9], v[132:133]
	v_fma_f64 v[132:133], v[164:165], s[6:7], v[132:133]
	v_add_f64 v[0:1], v[0:1], v[146:147]
	v_add_f64 v[158:159], v[158:159], v[162:163]
	v_fma_f64 v[162:163], v[124:125], s[4:5], v[166:167]
	v_add_f64 v[166:167], v[174:175], v[178:179]
	v_add_f64 v[146:147], v[176:177], v[182:183]
	v_fma_f64 v[174:175], v[156:157], s[4:5], v[184:185]
	v_fma_f64 v[142:143], v[156:157], s[2:3], v[142:143]
	v_add_f64 v[154:155], v[154:155], v[186:187]
	v_fma_f64 v[120:121], v[130:131], s[0:1], v[138:139]
	v_fma_f64 v[138:139], v[140:141], s[2:3], v[118:119]
	;; [unrolled: 1-line block ×3, first 2 shown]
	v_add_f64 v[178:179], v[122:123], v[114:115]
	v_fma_f64 v[128:129], v[124:125], s[8:9], v[128:129]
	v_add_f64 v[186:187], v[110:111], v[136:137]
	v_fma_f64 v[134:135], v[124:125], s[2:3], v[170:171]
	v_fma_f64 v[156:157], v[140:141], s[4:5], v[188:189]
	v_add_f64 v[182:183], v[194:195], v[196:197]
	v_fma_f64 v[184:185], v[164:165], s[4:5], v[198:199]
	;; [unrolled: 3-line block ×3, first 2 shown]
	v_fma_f64 v[172:173], v[172:173], s[4:5], v[132:133]
	v_add_f64 v[126:127], v[0:1], v[152:153]
	v_lshrrev_b32_e32 v0, 5, v100
	v_add_nc_u32_e32 v100, 17, v238
	v_fma_f64 v[124:125], v[130:131], s[0:1], v[144:145]
	v_fma_f64 v[114:115], v[158:159], s[0:1], v[162:163]
	;; [unrolled: 1-line block ×4, first 2 shown]
	v_mul_lo_u32 v146, 0x77, v0
	v_mul_hi_u32 v147, 0x44d72045, v100
	v_lshlrev_b64 v[0:1], 4, v[102:103]
	v_fma_f64 v[144:145], v[154:155], s[0:1], v[138:139]
	v_fma_f64 v[138:139], v[164:165], s[2:3], v[176:177]
	v_add_f64 v[104:105], v[104:105], v[178:179]
	v_add_f64 v[102:103], v[186:187], v[18:19]
	v_lshlrev_b64 v[18:19], 4, v[232:233]
	v_fma_f64 v[168:169], v[168:169], s[4:5], v[128:129]
	v_add_f64 v[128:129], v[148:149], v[150:151]
	v_fma_f64 v[142:143], v[182:183], s[0:1], v[184:185]
	v_fma_f64 v[110:111], v[158:159], s[0:1], v[134:135]
	v_sub_nc_u32_e32 v146, v238, v146
	v_lshrrev_b32_e32 v148, 5, v147
	v_fma_f64 v[134:135], v[160:161], s[0:1], v[172:173]
	v_add_co_u32 v0, vcc_lo, s10, v0
	v_add_co_ci_u32_e32 v1, vcc_lo, s11, v1, vcc_lo
	v_lshlrev_b32_e32 v146, 4, v146
	v_mul_lo_u32 v147, 0x77, v148
	v_add_co_u32 v0, vcc_lo, v0, v18
	v_add_co_ci_u32_e32 v1, vcc_lo, v1, v19, vcc_lo
	v_fma_f64 v[130:131], v[160:161], s[0:1], v[180:181]
	v_add_co_u32 v18, vcc_lo, v0, v146
	v_add_co_ci_u32_e32 v19, vcc_lo, 0, v1, vcc_lo
	v_sub_nc_u32_e32 v100, v100, v147
	v_add_co_u32 v146, vcc_lo, 0x800, v18
	v_add_co_ci_u32_e32 v147, vcc_lo, 0, v19, vcc_lo
	v_fma_f64 v[140:141], v[154:155], s[0:1], v[156:157]
	v_fma_f64 v[138:139], v[182:183], s[0:1], v[138:139]
	global_store_dwordx4 v[18:19], v[102:105], off
	v_mad_u64_u32 v[102:103], null, 0x253, v148, v[100:101]
	global_store_dwordx4 v[18:19], v[142:145], off offset:1904
	global_store_dwordx4 v[146:147], v[134:137], off offset:1760
	v_mov_b32_e32 v103, v101
	v_add_nc_u32_e32 v142, 34, v238
	v_add_co_u32 v104, vcc_lo, 0x1000, v18
	v_fma_f64 v[122:123], v[166:167], s[0:1], v[168:169]
	v_lshlrev_b64 v[134:135], 4, v[102:103]
	v_mul_hi_u32 v103, 0x44d72045, v142
	v_add_co_ci_u32_e32 v105, vcc_lo, 0, v19, vcc_lo
	v_add_co_u32 v18, vcc_lo, 0x1800, v18
	v_add_co_ci_u32_e32 v19, vcc_lo, 0, v19, vcc_lo
	v_add_nc_u32_e32 v100, 0x77, v102
	v_add_co_u32 v134, vcc_lo, v0, v134
	v_lshrrev_b32_e32 v143, 5, v103
	v_add_co_ci_u32_e32 v135, vcc_lo, v1, v135, vcc_lo
	v_lshlrev_b64 v[136:137], 4, v[100:101]
	global_store_dwordx4 v[104:105], v[130:133], off offset:1616
	global_store_dwordx4 v[18:19], v[138:141], off offset:1472
	global_store_dwordx4 v[134:135], v[126:129], off
	v_mul_lo_u32 v105, 0x77, v143
	v_add_nc_u32_e32 v100, 0xee, v102
	v_fma_f64 v[118:119], v[166:167], s[0:1], v[170:171]
	v_fma_f64 v[86:87], v[226:227], s[0:1], v[92:93]
	v_add_co_u32 v103, vcc_lo, v0, v136
	v_lshlrev_b64 v[18:19], 4, v[100:101]
	v_add_co_ci_u32_e32 v104, vcc_lo, v1, v137, vcc_lo
	v_add_nc_u32_e32 v100, 0x165, v102
	v_sub_nc_u32_e32 v105, v142, v105
	v_fma_f64 v[92:93], v[224:225], s[0:1], v[249:250]
	global_store_dwordx4 v[103:104], v[122:125], off
	v_add_co_u32 v18, vcc_lo, v0, v18
	v_lshlrev_b64 v[126:127], 4, v[100:101]
	v_add_nc_u32_e32 v100, 0x1dc, v102
	v_mad_u64_u32 v[102:103], null, 0x253, v143, v[105:106]
	v_add_co_ci_u32_e32 v19, vcc_lo, v1, v19, vcc_lo
	v_mov_b32_e32 v103, v101
	v_add_co_u32 v104, vcc_lo, v0, v126
	global_store_dwordx4 v[18:19], v[114:117], off
	v_lshlrev_b64 v[18:19], 4, v[100:101]
	v_lshlrev_b64 v[114:115], 4, v[102:103]
	v_add_nc_u32_e32 v103, 51, v238
	v_add_co_ci_u32_e32 v105, vcc_lo, v1, v127, vcc_lo
	v_add_nc_u32_e32 v100, 0x77, v102
	v_add_co_u32 v18, vcc_lo, v0, v18
	v_mul_hi_u32 v122, 0x44d72045, v103
	v_add_co_ci_u32_e32 v19, vcc_lo, v1, v19, vcc_lo
	v_add_co_u32 v114, vcc_lo, v0, v114
	v_add_co_ci_u32_e32 v115, vcc_lo, v1, v115, vcc_lo
	v_lshlrev_b64 v[116:117], 4, v[100:101]
	v_lshrrev_b32_e32 v122, 5, v122
	v_add_nc_u32_e32 v100, 0xee, v102
	global_store_dwordx4 v[104:105], v[110:113], off
	global_store_dwordx4 v[18:19], v[118:121], off
	;; [unrolled: 1-line block ×3, first 2 shown]
	v_fma_f64 v[68:69], v[234:235], s[0:1], v[68:69]
	v_fma_f64 v[56:57], v[212:213], s[0:1], v[214:215]
	v_mul_lo_u32 v18, 0x77, v122
	v_lshlrev_b64 v[10:11], 4, v[100:101]
	v_add_nc_u32_e32 v100, 0x165, v102
	v_add_co_u32 v12, vcc_lo, v0, v116
	v_add_co_ci_u32_e32 v13, vcc_lo, v1, v117, vcc_lo
	v_add_co_u32 v10, vcc_lo, v0, v10
	v_sub_nc_u32_e32 v18, v103, v18
	v_lshlrev_b64 v[103:104], 4, v[100:101]
	v_add_nc_u32_e32 v100, 0x1dc, v102
	v_add_co_ci_u32_e32 v11, vcc_lo, v1, v11, vcc_lo
	global_store_dwordx4 v[12:13], v[2:5], off
	v_mad_u64_u32 v[2:3], null, 0x253, v122, v[18:19]
	v_lshlrev_b64 v[4:5], 4, v[100:101]
	v_mov_b32_e32 v3, v101
	global_store_dwordx4 v[10:11], v[106:109], off
	v_add_co_u32 v10, vcc_lo, v0, v103
	v_add_nc_u32_e32 v102, 0x44, v238
	v_add_co_ci_u32_e32 v11, vcc_lo, v1, v104, vcc_lo
	v_lshlrev_b64 v[12:13], 4, v[2:3]
	v_add_co_u32 v3, vcc_lo, v0, v4
	v_add_co_ci_u32_e32 v4, vcc_lo, v1, v5, vcc_lo
	v_mul_hi_u32 v5, 0x44d72045, v102
	v_add_nc_u32_e32 v100, 0x77, v2
	v_add_co_u32 v12, vcc_lo, v0, v12
	v_add_co_ci_u32_e32 v13, vcc_lo, v1, v13, vcc_lo
	v_lshlrev_b64 v[18:19], 4, v[100:101]
	v_add_nc_u32_e32 v100, 0xee, v2
	v_lshrrev_b32_e32 v103, 5, v5
	global_store_dwordx4 v[10:11], v[92:95], off
	global_store_dwordx4 v[3:4], v[96:99], off
	;; [unrolled: 1-line block ×3, first 2 shown]
	v_fma_f64 v[42:43], v[230:231], s[0:1], v[202:203]
	v_lshlrev_b64 v[3:4], 4, v[100:101]
	v_mul_lo_u32 v5, 0x77, v103
	v_add_nc_u32_e32 v100, 0x165, v2
	v_add_co_u32 v10, vcc_lo, v0, v18
	v_add_co_ci_u32_e32 v11, vcc_lo, v1, v19, vcc_lo
	v_add_co_u32 v3, vcc_lo, v0, v3
	v_lshlrev_b64 v[12:13], 4, v[100:101]
	v_add_co_ci_u32_e32 v4, vcc_lo, v1, v4, vcc_lo
	v_sub_nc_u32_e32 v5, v102, v5
	v_add_nc_u32_e32 v100, 0x1dc, v2
	global_store_dwordx4 v[10:11], v[88:91], off
	global_store_dwordx4 v[3:4], v[84:87], off
	v_add_co_u32 v4, vcc_lo, v0, v12
	v_mad_u64_u32 v[10:11], null, 0x253, v103, v[5:6]
	v_add_co_ci_u32_e32 v5, vcc_lo, v1, v13, vcc_lo
	v_add_nc_u32_e32 v13, 0x55, v238
	v_mov_b32_e32 v11, v101
	v_lshlrev_b64 v[2:3], 4, v[100:101]
	v_add_nc_u32_e32 v100, 0x77, v10
	v_mul_hi_u32 v72, 0x44d72045, v13
	v_lshlrev_b64 v[11:12], 4, v[10:11]
	v_add_co_u32 v2, vcc_lo, v0, v2
	v_add_co_ci_u32_e32 v3, vcc_lo, v1, v3, vcc_lo
	v_add_co_u32 v11, vcc_lo, v0, v11
	v_lshrrev_b32_e32 v72, 5, v72
	v_lshlrev_b64 v[18:19], 4, v[100:101]
	v_add_nc_u32_e32 v100, 0xee, v10
	v_add_co_ci_u32_e32 v12, vcc_lo, v1, v12, vcc_lo
	global_store_dwordx4 v[4:5], v[76:79], off
	global_store_dwordx4 v[2:3], v[80:83], off
	;; [unrolled: 1-line block ×3, first 2 shown]
	v_mul_lo_u32 v36, 0x77, v72
	v_lshlrev_b64 v[2:3], 4, v[100:101]
	v_add_co_u32 v4, vcc_lo, v0, v18
	v_add_co_ci_u32_e32 v5, vcc_lo, v1, v19, vcc_lo
	v_add_nc_u32_e32 v100, 0x165, v10
	v_add_co_u32 v2, vcc_lo, v0, v2
	v_sub_nc_u32_e32 v13, v13, v36
	v_add_co_ci_u32_e32 v3, vcc_lo, v1, v3, vcc_lo
	v_lshlrev_b64 v[11:12], 4, v[100:101]
	v_add_nc_u32_e32 v100, 0x1dc, v10
	v_add_nc_u32_e32 v38, 0x66, v238
	global_store_dwordx4 v[4:5], v[68:71], off
	global_store_dwordx4 v[2:3], v[64:67], off
	v_mad_u64_u32 v[2:3], null, 0x253, v72, v[13:14]
	v_lshlrev_b64 v[4:5], 4, v[100:101]
	v_mul_hi_u32 v36, 0x44d72045, v38
	v_mov_b32_e32 v3, v101
	v_add_co_u32 v10, vcc_lo, v0, v11
	v_add_co_ci_u32_e32 v11, vcc_lo, v1, v12, vcc_lo
	v_add_nc_u32_e32 v100, 0x77, v2
	v_lshlrev_b64 v[12:13], 4, v[2:3]
	v_add_co_u32 v3, vcc_lo, v0, v4
	v_add_co_ci_u32_e32 v4, vcc_lo, v1, v5, vcc_lo
	v_lshrrev_b32_e32 v5, 5, v36
	v_lshlrev_b64 v[18:19], 4, v[100:101]
	v_add_nc_u32_e32 v100, 0xee, v2
	v_add_co_u32 v12, vcc_lo, v0, v12
	v_mul_lo_u32 v39, 0x77, v5
	v_add_co_ci_u32_e32 v13, vcc_lo, v1, v13, vcc_lo
	v_lshlrev_b64 v[36:37], 4, v[100:101]
	v_add_nc_u32_e32 v100, 0x165, v2
	v_add_co_u32 v18, vcc_lo, v0, v18
	v_add_co_ci_u32_e32 v19, vcc_lo, v1, v19, vcc_lo
	global_store_dwordx4 v[10:11], v[56:59], off
	global_store_dwordx4 v[3:4], v[60:63], off
	;; [unrolled: 1-line block ×4, first 2 shown]
	v_lshlrev_b64 v[3:4], 4, v[100:101]
	v_add_nc_u32_e32 v100, 0x1dc, v2
	v_sub_nc_u32_e32 v2, v38, v39
	v_add_co_u32 v10, vcc_lo, v0, v36
	v_add_co_ci_u32_e32 v11, vcc_lo, v1, v37, vcc_lo
	v_mad_u64_u32 v[14:15], null, 0x253, v5, v[2:3]
	v_lshlrev_b64 v[12:13], 4, v[100:101]
	v_add_co_u32 v2, vcc_lo, v0, v3
	v_mov_b32_e32 v15, v101
	v_add_co_ci_u32_e32 v3, vcc_lo, v1, v4, vcc_lo
	v_add_co_u32 v4, vcc_lo, v0, v12
	v_add_nc_u32_e32 v100, 0x77, v14
	v_add_co_ci_u32_e32 v5, vcc_lo, v1, v13, vcc_lo
	global_store_dwordx4 v[10:11], v[48:51], off
	v_lshlrev_b64 v[10:11], 4, v[14:15]
	global_store_dwordx4 v[2:3], v[40:43], off
	global_store_dwordx4 v[4:5], v[44:47], off
	v_lshlrev_b64 v[2:3], 4, v[100:101]
	v_add_nc_u32_e32 v100, 0xee, v14
	v_add_co_u32 v4, vcc_lo, v0, v10
	v_add_co_ci_u32_e32 v5, vcc_lo, v1, v11, vcc_lo
	v_lshlrev_b64 v[10:11], 4, v[100:101]
	v_add_nc_u32_e32 v100, 0x165, v14
	v_add_co_u32 v2, vcc_lo, v0, v2
	v_add_co_ci_u32_e32 v3, vcc_lo, v1, v3, vcc_lo
	;; [unrolled: 4-line block ×3, first 2 shown]
	v_lshlrev_b64 v[14:15], 4, v[100:101]
	v_add_co_u32 v12, vcc_lo, v0, v12
	v_add_co_ci_u32_e32 v13, vcc_lo, v1, v13, vcc_lo
	v_add_co_u32 v0, vcc_lo, v0, v14
	v_add_co_ci_u32_e32 v1, vcc_lo, v1, v15, vcc_lo
	global_store_dwordx4 v[4:5], v[6:9], off
	global_store_dwordx4 v[2:3], v[32:35], off
	;; [unrolled: 1-line block ×5, first 2 shown]
.LBB0_22:
	s_endpgm
	.section	.rodata,"a",@progbits
	.p2align	6, 0x0
	.amdhsa_kernel fft_rtc_back_len595_factors_7_17_5_wgs_51_tpt_17_halfLds_dp_op_CI_CI_unitstride_sbrr_dirReg
		.amdhsa_group_segment_fixed_size 0
		.amdhsa_private_segment_fixed_size 512
		.amdhsa_kernarg_size 104
		.amdhsa_user_sgpr_count 6
		.amdhsa_user_sgpr_private_segment_buffer 1
		.amdhsa_user_sgpr_dispatch_ptr 0
		.amdhsa_user_sgpr_queue_ptr 0
		.amdhsa_user_sgpr_kernarg_segment_ptr 1
		.amdhsa_user_sgpr_dispatch_id 0
		.amdhsa_user_sgpr_flat_scratch_init 0
		.amdhsa_user_sgpr_private_segment_size 0
		.amdhsa_wavefront_size32 1
		.amdhsa_uses_dynamic_stack 0
		.amdhsa_system_sgpr_private_segment_wavefront_offset 1
		.amdhsa_system_sgpr_workgroup_id_x 1
		.amdhsa_system_sgpr_workgroup_id_y 0
		.amdhsa_system_sgpr_workgroup_id_z 0
		.amdhsa_system_sgpr_workgroup_info 0
		.amdhsa_system_vgpr_workitem_id 0
		.amdhsa_next_free_vgpr 256
		.amdhsa_next_free_sgpr 64
		.amdhsa_reserve_vcc 1
		.amdhsa_reserve_flat_scratch 0
		.amdhsa_float_round_mode_32 0
		.amdhsa_float_round_mode_16_64 0
		.amdhsa_float_denorm_mode_32 3
		.amdhsa_float_denorm_mode_16_64 3
		.amdhsa_dx10_clamp 1
		.amdhsa_ieee_mode 1
		.amdhsa_fp16_overflow 0
		.amdhsa_workgroup_processor_mode 1
		.amdhsa_memory_ordered 1
		.amdhsa_forward_progress 0
		.amdhsa_shared_vgpr_count 0
		.amdhsa_exception_fp_ieee_invalid_op 0
		.amdhsa_exception_fp_denorm_src 0
		.amdhsa_exception_fp_ieee_div_zero 0
		.amdhsa_exception_fp_ieee_overflow 0
		.amdhsa_exception_fp_ieee_underflow 0
		.amdhsa_exception_fp_ieee_inexact 0
		.amdhsa_exception_int_div_zero 0
	.end_amdhsa_kernel
	.text
.Lfunc_end0:
	.size	fft_rtc_back_len595_factors_7_17_5_wgs_51_tpt_17_halfLds_dp_op_CI_CI_unitstride_sbrr_dirReg, .Lfunc_end0-fft_rtc_back_len595_factors_7_17_5_wgs_51_tpt_17_halfLds_dp_op_CI_CI_unitstride_sbrr_dirReg
                                        ; -- End function
	.section	.AMDGPU.csdata,"",@progbits
; Kernel info:
; codeLenInByte = 36544
; NumSgprs: 66
; NumVgprs: 256
; ScratchSize: 512
; MemoryBound: 1
; FloatMode: 240
; IeeeMode: 1
; LDSByteSize: 0 bytes/workgroup (compile time only)
; SGPRBlocks: 8
; VGPRBlocks: 31
; NumSGPRsForWavesPerEU: 66
; NumVGPRsForWavesPerEU: 256
; Occupancy: 4
; WaveLimiterHint : 1
; COMPUTE_PGM_RSRC2:SCRATCH_EN: 1
; COMPUTE_PGM_RSRC2:USER_SGPR: 6
; COMPUTE_PGM_RSRC2:TRAP_HANDLER: 0
; COMPUTE_PGM_RSRC2:TGID_X_EN: 1
; COMPUTE_PGM_RSRC2:TGID_Y_EN: 0
; COMPUTE_PGM_RSRC2:TGID_Z_EN: 0
; COMPUTE_PGM_RSRC2:TIDIG_COMP_CNT: 0
	.text
	.p2alignl 6, 3214868480
	.fill 48, 4, 3214868480
	.type	__hip_cuid_37b5cfcbc0f2f8,@object ; @__hip_cuid_37b5cfcbc0f2f8
	.section	.bss,"aw",@nobits
	.globl	__hip_cuid_37b5cfcbc0f2f8
__hip_cuid_37b5cfcbc0f2f8:
	.byte	0                               ; 0x0
	.size	__hip_cuid_37b5cfcbc0f2f8, 1

	.ident	"AMD clang version 19.0.0git (https://github.com/RadeonOpenCompute/llvm-project roc-6.4.0 25133 c7fe45cf4b819c5991fe208aaa96edf142730f1d)"
	.section	".note.GNU-stack","",@progbits
	.addrsig
	.addrsig_sym __hip_cuid_37b5cfcbc0f2f8
	.amdgpu_metadata
---
amdhsa.kernels:
  - .args:
      - .actual_access:  read_only
        .address_space:  global
        .offset:         0
        .size:           8
        .value_kind:     global_buffer
      - .offset:         8
        .size:           8
        .value_kind:     by_value
      - .actual_access:  read_only
        .address_space:  global
        .offset:         16
        .size:           8
        .value_kind:     global_buffer
      - .actual_access:  read_only
        .address_space:  global
        .offset:         24
        .size:           8
        .value_kind:     global_buffer
      - .actual_access:  read_only
        .address_space:  global
        .offset:         32
        .size:           8
        .value_kind:     global_buffer
      - .offset:         40
        .size:           8
        .value_kind:     by_value
      - .actual_access:  read_only
        .address_space:  global
        .offset:         48
        .size:           8
        .value_kind:     global_buffer
      - .actual_access:  read_only
        .address_space:  global
        .offset:         56
        .size:           8
        .value_kind:     global_buffer
      - .offset:         64
        .size:           4
        .value_kind:     by_value
      - .actual_access:  read_only
        .address_space:  global
        .offset:         72
        .size:           8
        .value_kind:     global_buffer
      - .actual_access:  read_only
        .address_space:  global
        .offset:         80
        .size:           8
        .value_kind:     global_buffer
      - .actual_access:  read_only
        .address_space:  global
        .offset:         88
        .size:           8
        .value_kind:     global_buffer
      - .actual_access:  write_only
        .address_space:  global
        .offset:         96
        .size:           8
        .value_kind:     global_buffer
    .group_segment_fixed_size: 0
    .kernarg_segment_align: 8
    .kernarg_segment_size: 104
    .language:       OpenCL C
    .language_version:
      - 2
      - 0
    .max_flat_workgroup_size: 51
    .name:           fft_rtc_back_len595_factors_7_17_5_wgs_51_tpt_17_halfLds_dp_op_CI_CI_unitstride_sbrr_dirReg
    .private_segment_fixed_size: 512
    .sgpr_count:     66
    .sgpr_spill_count: 0
    .symbol:         fft_rtc_back_len595_factors_7_17_5_wgs_51_tpt_17_halfLds_dp_op_CI_CI_unitstride_sbrr_dirReg.kd
    .uniform_work_group_size: 1
    .uses_dynamic_stack: false
    .vgpr_count:     256
    .vgpr_spill_count: 129
    .wavefront_size: 32
    .workgroup_processor_mode: 1
amdhsa.target:   amdgcn-amd-amdhsa--gfx1030
amdhsa.version:
  - 1
  - 2
...

	.end_amdgpu_metadata
